;; amdgpu-corpus repo=ROCm/vllm kind=compiled arch=gfx1030 opt=O3
	.amdgcn_target "amdgcn-amd-amdhsa--gfx1030"
	.amdhsa_code_object_version 6
	.section	.text._ZN4vllm23rotary_embedding_kernelIfLb1EEEvPKlPT_S4_PKS3_illliii,"axG",@progbits,_ZN4vllm23rotary_embedding_kernelIfLb1EEEvPKlPT_S4_PKS3_illliii,comdat
	.protected	_ZN4vllm23rotary_embedding_kernelIfLb1EEEvPKlPT_S4_PKS3_illliii ; -- Begin function _ZN4vllm23rotary_embedding_kernelIfLb1EEEvPKlPT_S4_PKS3_illliii
	.globl	_ZN4vllm23rotary_embedding_kernelIfLb1EEEvPKlPT_S4_PKS3_illliii
	.p2align	8
	.type	_ZN4vllm23rotary_embedding_kernelIfLb1EEEvPKlPT_S4_PKS3_illliii,@function
_ZN4vllm23rotary_embedding_kernelIfLb1EEEvPKlPT_S4_PKS3_illliii: ; @_ZN4vllm23rotary_embedding_kernelIfLb1EEEvPKlPT_S4_PKS3_illliii
; %bb.0:
	s_clause 0x1
	s_load_dword s20, s[4:5], 0x20
	s_load_dwordx2 s[8:9], s[4:5], 0x0
	s_ashr_i32 s7, s6, 31
	s_load_dwordx4 s[0:3], s[4:5], 0x10
	s_lshl_b64 s[10:11], s[6:7], 3
	s_mov_b32 s21, exec_lo
	s_waitcnt lgkmcnt(0)
	s_ashr_i32 s18, s20, 31
	s_add_u32 s8, s8, s10
	s_addc_u32 s9, s9, s11
	s_load_dwordx2 s[16:17], s[8:9], 0x0
	s_load_dwordx8 s[8:15], s[4:5], 0x28
	s_waitcnt lgkmcnt(0)
	s_mul_i32 s18, s16, s18
	s_mul_hi_u32 s19, s16, s20
	s_mul_i32 s17, s17, s20
	s_add_i32 s18, s19, s18
	s_mul_i32 s16, s16, s20
	s_add_i32 s17, s18, s17
	s_lshl_b64 s[16:17], s[16:17], 2
	s_add_u32 s18, s2, s16
	s_addc_u32 s19, s3, s17
	s_lshr_b32 s2, s20, 31
	s_add_i32 s20, s20, s2
	s_ashr_i32 s16, s20, 1
	s_ashr_i32 s17, s16, 31
	s_mul_i32 s20, s14, s16
	s_lshl_b64 s[2:3], s[16:17], 2
	s_add_u32 s14, s18, s2
	s_addc_u32 s17, s19, s3
	v_cmpx_gt_i32_e64 s20, v0
	s_cbranch_execz .LBB0_3
; %bb.1:
	s_load_dwordx2 s[22:23], s[4:5], 0x8
	s_mul_i32 s24, s8, s7
	s_mul_hi_u32 s25, s8, s6
	s_mul_i32 s9, s9, s6
	s_add_i32 s24, s25, s24
	s_mul_i32 s8, s8, s6
	s_add_i32 s9, s24, s9
	s_load_dword s24, s[4:5], 0x5c
	s_lshl_b64 s[8:9], s[8:9], 2
	s_mov_b32 s25, 0
	s_waitcnt lgkmcnt(0)
	s_add_u32 s8, s22, s8
	s_addc_u32 s9, s23, s9
	s_abs_i32 s22, s16
	s_sub_i32 s26, 0, s16
	v_cvt_f32_u32_e32 v1, s22
	s_sub_i32 s23, 0, s22
	v_rcp_iflag_f32_e32 v1, v1
	v_mul_f32_e32 v1, 0x4f7ffffe, v1
	v_cvt_u32_f32_e32 v1, v1
	v_mul_lo_u32 v2, s23, v1
	s_and_b32 s23, s24, 0xffff
	s_ashr_i32 s24, s16, 31
	v_mul_hi_u32 v2, v1, v2
	v_add_nc_u32_e32 v2, v1, v2
	v_mov_b32_e32 v1, v0
.LBB0_2:                                ; =>This Inner Loop Header: Depth=1
	v_sub_nc_u32_e32 v3, 0, v1
	v_ashrrev_i32_e32 v4, 31, v1
	v_max_i32_e32 v3, v1, v3
	v_xor_b32_e32 v4, s24, v4
	v_mul_hi_u32 v5, v3, v2
	v_mul_lo_u32 v6, v5, s22
	v_add_nc_u32_e32 v7, 1, v5
	v_sub_nc_u32_e32 v3, v3, v6
	v_subrev_nc_u32_e32 v6, s22, v3
	v_cmp_le_u32_e32 vcc_lo, s22, v3
	v_cndmask_b32_e32 v5, v5, v7, vcc_lo
	v_cndmask_b32_e32 v3, v3, v6, vcc_lo
	v_add_nc_u32_e32 v6, 1, v5
	v_cmp_le_u32_e32 vcc_lo, s22, v3
	v_cndmask_b32_e32 v3, v5, v6, vcc_lo
	v_xor_b32_e32 v3, v3, v4
	v_sub_nc_u32_e32 v5, v3, v4
	v_ashrrev_i32_e32 v7, 31, v5
	v_mad_u64_u32 v[3:4], null, s26, v5, v[1:2]
	v_mul_lo_u32 v8, s13, v5
	v_mad_u64_u32 v[5:6], null, s12, v5, 0
	v_mul_lo_u32 v7, s12, v7
	v_add_nc_u32_e32 v1, s23, v1
	v_ashrrev_i32_e32 v4, 31, v3
	v_add3_u32 v6, v6, v7, v8
	v_lshlrev_b64 v[3:4], 2, v[3:4]
	v_lshlrev_b64 v[5:6], 2, v[5:6]
	v_add_co_u32 v7, vcc_lo, s18, v3
	v_add_co_ci_u32_e64 v8, null, s19, v4, vcc_lo
	v_add_co_u32 v9, vcc_lo, s14, v3
	v_add_co_ci_u32_e64 v10, null, s17, v4, vcc_lo
	;; [unrolled: 2-line block ×5, first 2 shown]
	s_clause 0x1
	global_load_dword v7, v[7:8], off
	global_load_dword v8, v[9:10], off
	s_clause 0x1
	global_load_dword v9, v[3:4], off
	global_load_dword v10, v[5:6], off
	v_cmp_le_i32_e32 vcc_lo, s20, v1
	s_or_b32 s25, vcc_lo, s25
	s_waitcnt vmcnt(0)
	v_mul_f32_e32 v11, v8, v10
	v_mul_f32_e32 v10, v7, v10
	v_fma_f32 v7, v7, v9, -v11
	v_fmac_f32_e32 v10, v8, v9
	global_store_dword v[3:4], v7, off
	global_store_dword v[5:6], v10, off
	s_andn2_b32 exec_lo, exec_lo, s25
	s_cbranch_execnz .LBB0_2
.LBB0_3:
	s_or_b32 exec_lo, exec_lo, s21
	s_cmp_lg_u64 s[0:1], 0
	s_cbranch_scc0 .LBB0_7
; %bb.4:
	s_mul_i32 s8, s15, s16
	s_mov_b32 s9, exec_lo
	v_cmpx_gt_i32_e64 s8, v0
	s_cbranch_execz .LBB0_7
; %bb.5:
	s_mul_i32 s7, s10, s7
	s_mul_hi_u32 s9, s10, s6
	s_load_dword s4, s[4:5], 0x5c
	s_add_i32 s7, s9, s7
	s_mul_i32 s9, s11, s6
	s_mul_i32 s6, s10, s6
	s_add_i32 s7, s7, s9
	s_lshl_b64 s[6:7], s[6:7], 2
	s_add_u32 s0, s0, s6
	s_addc_u32 s1, s1, s7
	s_abs_i32 s6, s16
	s_mov_b32 s7, 0
	v_cvt_f32_u32_e32 v1, s6
	s_sub_i32 s5, 0, s6
	s_sub_i32 s9, 0, s16
	v_rcp_iflag_f32_e32 v1, v1
	s_waitcnt lgkmcnt(0)
	s_and_b32 s4, s4, 0xffff
	v_mul_f32_e32 v1, 0x4f7ffffe, v1
	v_cvt_u32_f32_e32 v1, v1
	v_mul_lo_u32 v2, s5, v1
	s_ashr_i32 s5, s16, 31
	v_mul_hi_u32 v2, v1, v2
	v_add_nc_u32_e32 v1, v1, v2
.LBB0_6:                                ; =>This Inner Loop Header: Depth=1
	v_sub_nc_u32_e32 v2, 0, v0
	v_ashrrev_i32_e32 v3, 31, v0
	v_max_i32_e32 v2, v0, v2
	v_xor_b32_e32 v3, s5, v3
	v_mul_hi_u32 v4, v2, v1
	v_mul_lo_u32 v5, v4, s6
	v_add_nc_u32_e32 v6, 1, v4
	v_sub_nc_u32_e32 v2, v2, v5
	v_subrev_nc_u32_e32 v5, s6, v2
	v_cmp_le_u32_e32 vcc_lo, s6, v2
	v_cndmask_b32_e32 v4, v4, v6, vcc_lo
	v_cndmask_b32_e32 v2, v2, v5, vcc_lo
	v_add_nc_u32_e32 v5, 1, v4
	v_cmp_le_u32_e32 vcc_lo, s6, v2
	v_cndmask_b32_e32 v2, v4, v5, vcc_lo
	v_xor_b32_e32 v2, v2, v3
	v_sub_nc_u32_e32 v4, v2, v3
	v_ashrrev_i32_e32 v6, 31, v4
	v_mad_u64_u32 v[2:3], null, s9, v4, v[0:1]
	v_mul_lo_u32 v7, s13, v4
	v_mad_u64_u32 v[4:5], null, s12, v4, 0
	v_mul_lo_u32 v6, s12, v6
	v_add_nc_u32_e32 v0, s4, v0
	v_ashrrev_i32_e32 v3, 31, v2
	v_add3_u32 v5, v5, v6, v7
	v_lshlrev_b64 v[2:3], 2, v[2:3]
	v_lshlrev_b64 v[4:5], 2, v[4:5]
	v_add_co_u32 v6, vcc_lo, s18, v2
	v_add_co_ci_u32_e64 v7, null, s19, v3, vcc_lo
	v_add_co_u32 v8, vcc_lo, s14, v2
	v_add_co_ci_u32_e64 v9, null, s17, v3, vcc_lo
	;; [unrolled: 2-line block ×5, first 2 shown]
	s_clause 0x1
	global_load_dword v6, v[6:7], off
	global_load_dword v7, v[8:9], off
	s_clause 0x1
	global_load_dword v8, v[2:3], off
	global_load_dword v9, v[4:5], off
	v_cmp_le_i32_e32 vcc_lo, s8, v0
	s_or_b32 s7, vcc_lo, s7
	s_waitcnt vmcnt(0)
	v_mul_f32_e32 v10, v7, v9
	v_mul_f32_e32 v9, v6, v9
	v_fma_f32 v6, v6, v8, -v10
	v_fmac_f32_e32 v9, v7, v8
	global_store_dword v[2:3], v6, off
	global_store_dword v[4:5], v9, off
	s_andn2_b32 exec_lo, exec_lo, s7
	s_cbranch_execnz .LBB0_6
.LBB0_7:
	s_endpgm
	.section	.rodata,"a",@progbits
	.p2align	6, 0x0
	.amdhsa_kernel _ZN4vllm23rotary_embedding_kernelIfLb1EEEvPKlPT_S4_PKS3_illliii
		.amdhsa_group_segment_fixed_size 0
		.amdhsa_private_segment_fixed_size 0
		.amdhsa_kernarg_size 336
		.amdhsa_user_sgpr_count 6
		.amdhsa_user_sgpr_private_segment_buffer 1
		.amdhsa_user_sgpr_dispatch_ptr 0
		.amdhsa_user_sgpr_queue_ptr 0
		.amdhsa_user_sgpr_kernarg_segment_ptr 1
		.amdhsa_user_sgpr_dispatch_id 0
		.amdhsa_user_sgpr_flat_scratch_init 0
		.amdhsa_user_sgpr_private_segment_size 0
		.amdhsa_wavefront_size32 1
		.amdhsa_uses_dynamic_stack 0
		.amdhsa_system_sgpr_private_segment_wavefront_offset 0
		.amdhsa_system_sgpr_workgroup_id_x 1
		.amdhsa_system_sgpr_workgroup_id_y 0
		.amdhsa_system_sgpr_workgroup_id_z 0
		.amdhsa_system_sgpr_workgroup_info 0
		.amdhsa_system_vgpr_workitem_id 0
		.amdhsa_next_free_vgpr 12
		.amdhsa_next_free_sgpr 27
		.amdhsa_reserve_vcc 1
		.amdhsa_reserve_flat_scratch 0
		.amdhsa_float_round_mode_32 0
		.amdhsa_float_round_mode_16_64 0
		.amdhsa_float_denorm_mode_32 3
		.amdhsa_float_denorm_mode_16_64 3
		.amdhsa_dx10_clamp 1
		.amdhsa_ieee_mode 1
		.amdhsa_fp16_overflow 0
		.amdhsa_workgroup_processor_mode 1
		.amdhsa_memory_ordered 1
		.amdhsa_forward_progress 1
		.amdhsa_shared_vgpr_count 0
		.amdhsa_exception_fp_ieee_invalid_op 0
		.amdhsa_exception_fp_denorm_src 0
		.amdhsa_exception_fp_ieee_div_zero 0
		.amdhsa_exception_fp_ieee_overflow 0
		.amdhsa_exception_fp_ieee_underflow 0
		.amdhsa_exception_fp_ieee_inexact 0
		.amdhsa_exception_int_div_zero 0
	.end_amdhsa_kernel
	.section	.text._ZN4vllm23rotary_embedding_kernelIfLb1EEEvPKlPT_S4_PKS3_illliii,"axG",@progbits,_ZN4vllm23rotary_embedding_kernelIfLb1EEEvPKlPT_S4_PKS3_illliii,comdat
.Lfunc_end0:
	.size	_ZN4vllm23rotary_embedding_kernelIfLb1EEEvPKlPT_S4_PKS3_illliii, .Lfunc_end0-_ZN4vllm23rotary_embedding_kernelIfLb1EEEvPKlPT_S4_PKS3_illliii
                                        ; -- End function
	.set _ZN4vllm23rotary_embedding_kernelIfLb1EEEvPKlPT_S4_PKS3_illliii.num_vgpr, 12
	.set _ZN4vllm23rotary_embedding_kernelIfLb1EEEvPKlPT_S4_PKS3_illliii.num_agpr, 0
	.set _ZN4vllm23rotary_embedding_kernelIfLb1EEEvPKlPT_S4_PKS3_illliii.numbered_sgpr, 27
	.set _ZN4vllm23rotary_embedding_kernelIfLb1EEEvPKlPT_S4_PKS3_illliii.num_named_barrier, 0
	.set _ZN4vllm23rotary_embedding_kernelIfLb1EEEvPKlPT_S4_PKS3_illliii.private_seg_size, 0
	.set _ZN4vllm23rotary_embedding_kernelIfLb1EEEvPKlPT_S4_PKS3_illliii.uses_vcc, 1
	.set _ZN4vllm23rotary_embedding_kernelIfLb1EEEvPKlPT_S4_PKS3_illliii.uses_flat_scratch, 0
	.set _ZN4vllm23rotary_embedding_kernelIfLb1EEEvPKlPT_S4_PKS3_illliii.has_dyn_sized_stack, 0
	.set _ZN4vllm23rotary_embedding_kernelIfLb1EEEvPKlPT_S4_PKS3_illliii.has_recursion, 0
	.set _ZN4vllm23rotary_embedding_kernelIfLb1EEEvPKlPT_S4_PKS3_illliii.has_indirect_call, 0
	.section	.AMDGPU.csdata,"",@progbits
; Kernel info:
; codeLenInByte = 1076
; TotalNumSgprs: 29
; NumVgprs: 12
; ScratchSize: 0
; MemoryBound: 0
; FloatMode: 240
; IeeeMode: 1
; LDSByteSize: 0 bytes/workgroup (compile time only)
; SGPRBlocks: 0
; VGPRBlocks: 1
; NumSGPRsForWavesPerEU: 29
; NumVGPRsForWavesPerEU: 12
; Occupancy: 16
; WaveLimiterHint : 1
; COMPUTE_PGM_RSRC2:SCRATCH_EN: 0
; COMPUTE_PGM_RSRC2:USER_SGPR: 6
; COMPUTE_PGM_RSRC2:TRAP_HANDLER: 0
; COMPUTE_PGM_RSRC2:TGID_X_EN: 1
; COMPUTE_PGM_RSRC2:TGID_Y_EN: 0
; COMPUTE_PGM_RSRC2:TGID_Z_EN: 0
; COMPUTE_PGM_RSRC2:TIDIG_COMP_CNT: 0
	.section	.text._ZN4vllm23rotary_embedding_kernelIfLb0EEEvPKlPT_S4_PKS3_illliii,"axG",@progbits,_ZN4vllm23rotary_embedding_kernelIfLb0EEEvPKlPT_S4_PKS3_illliii,comdat
	.protected	_ZN4vllm23rotary_embedding_kernelIfLb0EEEvPKlPT_S4_PKS3_illliii ; -- Begin function _ZN4vllm23rotary_embedding_kernelIfLb0EEEvPKlPT_S4_PKS3_illliii
	.globl	_ZN4vllm23rotary_embedding_kernelIfLb0EEEvPKlPT_S4_PKS3_illliii
	.p2align	8
	.type	_ZN4vllm23rotary_embedding_kernelIfLb0EEEvPKlPT_S4_PKS3_illliii,@function
_ZN4vllm23rotary_embedding_kernelIfLb0EEEvPKlPT_S4_PKS3_illliii: ; @_ZN4vllm23rotary_embedding_kernelIfLb0EEEvPKlPT_S4_PKS3_illliii
; %bb.0:
	s_clause 0x1
	s_load_dword s18, s[4:5], 0x20
	s_load_dwordx2 s[8:9], s[4:5], 0x0
	s_ashr_i32 s7, s6, 31
	s_load_dwordx4 s[0:3], s[4:5], 0x10
	s_lshl_b64 s[10:11], s[6:7], 3
	s_waitcnt lgkmcnt(0)
	s_ashr_i32 s19, s18, 31
	s_add_u32 s8, s8, s10
	s_addc_u32 s9, s9, s11
	s_load_dwordx2 s[16:17], s[8:9], 0x0
	s_load_dwordx8 s[8:15], s[4:5], 0x28
	s_waitcnt lgkmcnt(0)
	s_mul_i32 s19, s16, s19
	s_mul_hi_u32 s20, s16, s18
	s_mul_i32 s17, s17, s18
	s_add_i32 s19, s20, s19
	s_mul_i32 s16, s16, s18
	s_add_i32 s17, s19, s17
	s_lshl_b64 s[16:17], s[16:17], 2
	s_add_u32 s16, s2, s16
	s_addc_u32 s17, s3, s17
	s_lshr_b32 s2, s18, 31
	s_add_i32 s18, s18, s2
	s_ashr_i32 s2, s18, 1
	s_ashr_i32 s3, s2, 31
	s_mul_i32 s19, s14, s2
	s_lshl_b64 s[20:21], s[2:3], 2
	s_add_u32 s14, s16, s20
	s_addc_u32 s18, s17, s21
	s_mov_b32 s20, exec_lo
	v_cmpx_gt_i32_e64 s19, v0
	s_cbranch_execz .LBB1_3
; %bb.1:
	s_load_dwordx2 s[22:23], s[4:5], 0x8
	s_mul_i32 s21, s8, s7
	s_mul_hi_u32 s24, s8, s6
	s_mul_i32 s9, s9, s6
	s_add_i32 s21, s24, s21
	s_mul_i32 s8, s8, s6
	s_add_i32 s9, s21, s9
	s_load_dword s24, s[4:5], 0x5c
	s_lshl_b64 s[8:9], s[8:9], 2
	s_waitcnt lgkmcnt(0)
	s_add_u32 s8, s22, s8
	s_addc_u32 s9, s23, s9
	s_abs_i32 s21, s2
	s_sub_i32 s26, 0, s2
	v_cvt_f32_u32_e32 v1, s21
	s_sub_i32 s22, 0, s21
	s_and_b32 s23, s24, 0xffff
	s_lshl_b32 s24, s2, 1
	v_rcp_iflag_f32_e32 v1, v1
	s_sub_i32 s24, 0, s24
	s_lshl_b32 s25, s23, 1
	v_mul_f32_e32 v1, 0x4f7ffffe, v1
	v_cvt_u32_f32_e32 v2, v1
	v_mul_lo_u32 v1, s22, v2
	s_mov_b32 s22, 0
	v_mul_hi_u32 v3, v2, v1
	v_lshlrev_b32_e32 v1, 1, v0
	v_add_nc_u32_e32 v3, v2, v3
	v_mov_b32_e32 v2, v0
.LBB1_2:                                ; =>This Inner Loop Header: Depth=1
	v_sub_nc_u32_e32 v4, 0, v2
	v_ashrrev_i32_e32 v5, 31, v2
	v_max_i32_e32 v4, v2, v4
	v_xor_b32_e32 v5, s3, v5
	v_mul_hi_u32 v6, v4, v3
	v_mul_lo_u32 v7, v6, s21
	v_add_nc_u32_e32 v8, 1, v6
	v_sub_nc_u32_e32 v4, v4, v7
	v_subrev_nc_u32_e32 v7, s21, v4
	v_cmp_le_u32_e32 vcc_lo, s21, v4
	v_cndmask_b32_e32 v6, v6, v8, vcc_lo
	v_cndmask_b32_e32 v4, v4, v7, vcc_lo
	v_add_nc_u32_e32 v7, 1, v6
	v_cmp_le_u32_e32 vcc_lo, s21, v4
	v_cndmask_b32_e32 v4, v6, v7, vcc_lo
	v_xor_b32_e32 v4, v4, v5
	v_sub_nc_u32_e32 v8, v4, v5
	v_ashrrev_i32_e32 v10, 31, v8
	v_mad_u64_u32 v[4:5], null, s26, v8, v[2:3]
	v_mul_lo_u32 v11, s13, v8
	v_mad_u64_u32 v[6:7], null, s12, v8, 0
	v_mul_lo_u32 v10, s12, v10
	v_mad_u64_u32 v[8:9], null, s24, v8, v[1:2]
	v_ashrrev_i32_e32 v5, 31, v4
	v_add_nc_u32_e32 v2, s23, v2
	v_add_nc_u32_e32 v1, s25, v1
	v_add3_u32 v7, v7, v10, v11
	v_lshlrev_b64 v[4:5], 2, v[4:5]
	v_ashrrev_i32_e32 v9, 31, v8
	v_lshlrev_b64 v[6:7], 2, v[6:7]
	v_add_co_u32 v10, vcc_lo, s16, v4
	v_add_co_ci_u32_e64 v11, null, s17, v5, vcc_lo
	v_add_co_u32 v4, vcc_lo, s14, v4
	v_lshlrev_b64 v[8:9], 2, v[8:9]
	v_add_co_ci_u32_e64 v5, null, s18, v5, vcc_lo
	v_add_co_u32 v6, vcc_lo, s8, v6
	v_add_co_ci_u32_e64 v7, null, s9, v7, vcc_lo
	v_add_co_u32 v6, vcc_lo, v6, v8
	v_add_co_ci_u32_e64 v7, null, v7, v9, vcc_lo
	s_clause 0x1
	global_load_dword v8, v[10:11], off
	global_load_dword v10, v[4:5], off
	global_load_dwordx2 v[4:5], v[6:7], off
	v_cmp_le_i32_e32 vcc_lo, s19, v2
	s_or_b32 s22, vcc_lo, s22
	s_waitcnt vmcnt(0)
	v_mul_f32_e32 v11, v10, v5
	v_mul_f32_e32 v9, v8, v5
	v_fma_f32 v8, v8, v4, -v11
	v_fmac_f32_e32 v9, v10, v4
	global_store_dwordx2 v[6:7], v[8:9], off
	s_andn2_b32 exec_lo, exec_lo, s22
	s_cbranch_execnz .LBB1_2
.LBB1_3:
	s_or_b32 exec_lo, exec_lo, s20
	s_cmp_lg_u64 s[0:1], 0
	s_cbranch_scc0 .LBB1_7
; %bb.4:
	s_mul_i32 s8, s15, s2
	s_mov_b32 s9, exec_lo
	v_cmpx_gt_i32_e64 s8, v0
	s_cbranch_execz .LBB1_7
; %bb.5:
	s_mul_i32 s7, s10, s7
	s_mul_hi_u32 s9, s10, s6
	s_load_dword s5, s[4:5], 0x5c
	s_add_i32 s7, s9, s7
	s_mul_i32 s9, s11, s6
	s_mul_i32 s6, s10, s6
	s_add_i32 s7, s7, s9
	s_lshl_b64 s[6:7], s[6:7], 2
	s_add_u32 s0, s0, s6
	s_addc_u32 s1, s1, s7
	s_abs_i32 s6, s2
	s_lshl_b32 s7, s2, 1
	v_cvt_f32_u32_e32 v1, s6
	s_sub_i32 s4, 0, s6
	s_sub_i32 s7, 0, s7
	;; [unrolled: 1-line block ×3, first 2 shown]
	v_rcp_iflag_f32_e32 v1, v1
	s_waitcnt lgkmcnt(0)
	s_and_b32 s5, s5, 0xffff
	s_lshl_b32 s9, s5, 1
	v_mul_f32_e32 v1, 0x4f7ffffe, v1
	v_cvt_u32_f32_e32 v1, v1
	v_mul_lo_u32 v2, s4, v1
	s_mov_b32 s4, 0
	v_mul_hi_u32 v2, v1, v2
	v_add_nc_u32_e32 v2, v1, v2
	v_lshlrev_b32_e32 v1, 1, v0
.LBB1_6:                                ; =>This Inner Loop Header: Depth=1
	v_sub_nc_u32_e32 v3, 0, v0
	v_ashrrev_i32_e32 v4, 31, v0
	v_max_i32_e32 v3, v0, v3
	v_xor_b32_e32 v4, s3, v4
	v_mul_hi_u32 v5, v3, v2
	v_mul_lo_u32 v6, v5, s6
	v_add_nc_u32_e32 v7, 1, v5
	v_sub_nc_u32_e32 v3, v3, v6
	v_subrev_nc_u32_e32 v6, s6, v3
	v_cmp_le_u32_e32 vcc_lo, s6, v3
	v_cndmask_b32_e32 v5, v5, v7, vcc_lo
	v_cndmask_b32_e32 v3, v3, v6, vcc_lo
	v_add_nc_u32_e32 v6, 1, v5
	v_cmp_le_u32_e32 vcc_lo, s6, v3
	v_cndmask_b32_e32 v3, v5, v6, vcc_lo
	v_xor_b32_e32 v3, v3, v4
	v_sub_nc_u32_e32 v7, v3, v4
	v_ashrrev_i32_e32 v9, 31, v7
	v_mad_u64_u32 v[3:4], null, s2, v7, v[0:1]
	v_mul_lo_u32 v10, s13, v7
	v_mad_u64_u32 v[5:6], null, s12, v7, 0
	v_mul_lo_u32 v9, s12, v9
	v_mad_u64_u32 v[7:8], null, s7, v7, v[1:2]
	v_ashrrev_i32_e32 v4, 31, v3
	v_add_nc_u32_e32 v0, s5, v0
	v_add_nc_u32_e32 v1, s9, v1
	v_add3_u32 v6, v6, v9, v10
	v_lshlrev_b64 v[3:4], 2, v[3:4]
	v_ashrrev_i32_e32 v8, 31, v7
	v_lshlrev_b64 v[5:6], 2, v[5:6]
	v_add_co_u32 v9, vcc_lo, s16, v3
	v_add_co_ci_u32_e64 v10, null, s17, v4, vcc_lo
	v_add_co_u32 v3, vcc_lo, s14, v3
	v_lshlrev_b64 v[7:8], 2, v[7:8]
	v_add_co_ci_u32_e64 v4, null, s18, v4, vcc_lo
	v_add_co_u32 v5, vcc_lo, s0, v5
	v_add_co_ci_u32_e64 v6, null, s1, v6, vcc_lo
	v_add_co_u32 v5, vcc_lo, v5, v7
	v_add_co_ci_u32_e64 v6, null, v6, v8, vcc_lo
	s_clause 0x1
	global_load_dword v7, v[9:10], off
	global_load_dword v9, v[3:4], off
	global_load_dwordx2 v[3:4], v[5:6], off
	v_cmp_le_i32_e32 vcc_lo, s8, v0
	s_or_b32 s4, vcc_lo, s4
	s_waitcnt vmcnt(0)
	v_mul_f32_e32 v10, v9, v4
	v_mul_f32_e32 v8, v7, v4
	v_fma_f32 v7, v7, v3, -v10
	v_fmac_f32_e32 v8, v9, v3
	global_store_dwordx2 v[5:6], v[7:8], off
	s_andn2_b32 exec_lo, exec_lo, s4
	s_cbranch_execnz .LBB1_6
.LBB1_7:
	s_endpgm
	.section	.rodata,"a",@progbits
	.p2align	6, 0x0
	.amdhsa_kernel _ZN4vllm23rotary_embedding_kernelIfLb0EEEvPKlPT_S4_PKS3_illliii
		.amdhsa_group_segment_fixed_size 0
		.amdhsa_private_segment_fixed_size 0
		.amdhsa_kernarg_size 336
		.amdhsa_user_sgpr_count 6
		.amdhsa_user_sgpr_private_segment_buffer 1
		.amdhsa_user_sgpr_dispatch_ptr 0
		.amdhsa_user_sgpr_queue_ptr 0
		.amdhsa_user_sgpr_kernarg_segment_ptr 1
		.amdhsa_user_sgpr_dispatch_id 0
		.amdhsa_user_sgpr_flat_scratch_init 0
		.amdhsa_user_sgpr_private_segment_size 0
		.amdhsa_wavefront_size32 1
		.amdhsa_uses_dynamic_stack 0
		.amdhsa_system_sgpr_private_segment_wavefront_offset 0
		.amdhsa_system_sgpr_workgroup_id_x 1
		.amdhsa_system_sgpr_workgroup_id_y 0
		.amdhsa_system_sgpr_workgroup_id_z 0
		.amdhsa_system_sgpr_workgroup_info 0
		.amdhsa_system_vgpr_workitem_id 0
		.amdhsa_next_free_vgpr 12
		.amdhsa_next_free_sgpr 27
		.amdhsa_reserve_vcc 1
		.amdhsa_reserve_flat_scratch 0
		.amdhsa_float_round_mode_32 0
		.amdhsa_float_round_mode_16_64 0
		.amdhsa_float_denorm_mode_32 3
		.amdhsa_float_denorm_mode_16_64 3
		.amdhsa_dx10_clamp 1
		.amdhsa_ieee_mode 1
		.amdhsa_fp16_overflow 0
		.amdhsa_workgroup_processor_mode 1
		.amdhsa_memory_ordered 1
		.amdhsa_forward_progress 1
		.amdhsa_shared_vgpr_count 0
		.amdhsa_exception_fp_ieee_invalid_op 0
		.amdhsa_exception_fp_denorm_src 0
		.amdhsa_exception_fp_ieee_div_zero 0
		.amdhsa_exception_fp_ieee_overflow 0
		.amdhsa_exception_fp_ieee_underflow 0
		.amdhsa_exception_fp_ieee_inexact 0
		.amdhsa_exception_int_div_zero 0
	.end_amdhsa_kernel
	.section	.text._ZN4vllm23rotary_embedding_kernelIfLb0EEEvPKlPT_S4_PKS3_illliii,"axG",@progbits,_ZN4vllm23rotary_embedding_kernelIfLb0EEEvPKlPT_S4_PKS3_illliii,comdat
.Lfunc_end1:
	.size	_ZN4vllm23rotary_embedding_kernelIfLb0EEEvPKlPT_S4_PKS3_illliii, .Lfunc_end1-_ZN4vllm23rotary_embedding_kernelIfLb0EEEvPKlPT_S4_PKS3_illliii
                                        ; -- End function
	.set _ZN4vllm23rotary_embedding_kernelIfLb0EEEvPKlPT_S4_PKS3_illliii.num_vgpr, 12
	.set _ZN4vllm23rotary_embedding_kernelIfLb0EEEvPKlPT_S4_PKS3_illliii.num_agpr, 0
	.set _ZN4vllm23rotary_embedding_kernelIfLb0EEEvPKlPT_S4_PKS3_illliii.numbered_sgpr, 27
	.set _ZN4vllm23rotary_embedding_kernelIfLb0EEEvPKlPT_S4_PKS3_illliii.num_named_barrier, 0
	.set _ZN4vllm23rotary_embedding_kernelIfLb0EEEvPKlPT_S4_PKS3_illliii.private_seg_size, 0
	.set _ZN4vllm23rotary_embedding_kernelIfLb0EEEvPKlPT_S4_PKS3_illliii.uses_vcc, 1
	.set _ZN4vllm23rotary_embedding_kernelIfLb0EEEvPKlPT_S4_PKS3_illliii.uses_flat_scratch, 0
	.set _ZN4vllm23rotary_embedding_kernelIfLb0EEEvPKlPT_S4_PKS3_illliii.has_dyn_sized_stack, 0
	.set _ZN4vllm23rotary_embedding_kernelIfLb0EEEvPKlPT_S4_PKS3_illliii.has_recursion, 0
	.set _ZN4vllm23rotary_embedding_kernelIfLb0EEEvPKlPT_S4_PKS3_illliii.has_indirect_call, 0
	.section	.AMDGPU.csdata,"",@progbits
; Kernel info:
; codeLenInByte = 1076
; TotalNumSgprs: 29
; NumVgprs: 12
; ScratchSize: 0
; MemoryBound: 0
; FloatMode: 240
; IeeeMode: 1
; LDSByteSize: 0 bytes/workgroup (compile time only)
; SGPRBlocks: 0
; VGPRBlocks: 1
; NumSGPRsForWavesPerEU: 29
; NumVGPRsForWavesPerEU: 12
; Occupancy: 16
; WaveLimiterHint : 1
; COMPUTE_PGM_RSRC2:SCRATCH_EN: 0
; COMPUTE_PGM_RSRC2:USER_SGPR: 6
; COMPUTE_PGM_RSRC2:TRAP_HANDLER: 0
; COMPUTE_PGM_RSRC2:TGID_X_EN: 1
; COMPUTE_PGM_RSRC2:TGID_Y_EN: 0
; COMPUTE_PGM_RSRC2:TGID_Z_EN: 0
; COMPUTE_PGM_RSRC2:TIDIG_COMP_CNT: 0
	.section	.text._ZN4vllm23rotary_embedding_kernelIN3c104HalfELb1EEEvPKlPT_S6_PKS5_illliii,"axG",@progbits,_ZN4vllm23rotary_embedding_kernelIN3c104HalfELb1EEEvPKlPT_S6_PKS5_illliii,comdat
	.protected	_ZN4vllm23rotary_embedding_kernelIN3c104HalfELb1EEEvPKlPT_S6_PKS5_illliii ; -- Begin function _ZN4vllm23rotary_embedding_kernelIN3c104HalfELb1EEEvPKlPT_S6_PKS5_illliii
	.globl	_ZN4vllm23rotary_embedding_kernelIN3c104HalfELb1EEEvPKlPT_S6_PKS5_illliii
	.p2align	8
	.type	_ZN4vllm23rotary_embedding_kernelIN3c104HalfELb1EEEvPKlPT_S6_PKS5_illliii,@function
_ZN4vllm23rotary_embedding_kernelIN3c104HalfELb1EEEvPKlPT_S6_PKS5_illliii: ; @_ZN4vllm23rotary_embedding_kernelIN3c104HalfELb1EEEvPKlPT_S6_PKS5_illliii
; %bb.0:
	s_clause 0x1
	s_load_dword s20, s[4:5], 0x20
	s_load_dwordx2 s[8:9], s[4:5], 0x0
	s_ashr_i32 s7, s6, 31
	s_load_dwordx4 s[0:3], s[4:5], 0x10
	s_lshl_b64 s[10:11], s[6:7], 3
	s_mov_b32 s21, exec_lo
	s_waitcnt lgkmcnt(0)
	s_ashr_i32 s18, s20, 31
	s_add_u32 s8, s8, s10
	s_addc_u32 s9, s9, s11
	s_load_dwordx2 s[16:17], s[8:9], 0x0
	s_load_dwordx8 s[8:15], s[4:5], 0x28
	s_waitcnt lgkmcnt(0)
	s_mul_i32 s18, s16, s18
	s_mul_hi_u32 s19, s16, s20
	s_mul_i32 s17, s17, s20
	s_add_i32 s18, s19, s18
	s_mul_i32 s16, s16, s20
	s_add_i32 s17, s18, s17
	s_lshl_b64 s[16:17], s[16:17], 1
	s_add_u32 s18, s2, s16
	s_addc_u32 s19, s3, s17
	s_lshr_b32 s2, s20, 31
	s_add_i32 s20, s20, s2
	s_ashr_i32 s16, s20, 1
	s_ashr_i32 s17, s16, 31
	s_mul_i32 s20, s14, s16
	s_lshl_b64 s[2:3], s[16:17], 1
	s_add_u32 s14, s18, s2
	s_addc_u32 s17, s19, s3
	v_cmpx_gt_i32_e64 s20, v0
	s_cbranch_execz .LBB2_3
; %bb.1:
	s_load_dwordx2 s[22:23], s[4:5], 0x8
	s_mul_i32 s24, s8, s7
	s_mul_hi_u32 s25, s8, s6
	s_mul_i32 s9, s9, s6
	s_add_i32 s24, s25, s24
	s_mul_i32 s8, s8, s6
	s_add_i32 s9, s24, s9
	s_load_dword s24, s[4:5], 0x5c
	s_lshl_b64 s[8:9], s[8:9], 1
	s_mov_b32 s25, 0
	s_waitcnt lgkmcnt(0)
	s_add_u32 s8, s22, s8
	s_addc_u32 s9, s23, s9
	s_abs_i32 s22, s16
	s_sub_i32 s26, 0, s16
	v_cvt_f32_u32_e32 v1, s22
	s_sub_i32 s23, 0, s22
	v_rcp_iflag_f32_e32 v1, v1
	v_mul_f32_e32 v1, 0x4f7ffffe, v1
	v_cvt_u32_f32_e32 v1, v1
	v_mul_lo_u32 v2, s23, v1
	s_and_b32 s23, s24, 0xffff
	s_ashr_i32 s24, s16, 31
	v_mul_hi_u32 v2, v1, v2
	v_add_nc_u32_e32 v2, v1, v2
	v_mov_b32_e32 v1, v0
.LBB2_2:                                ; =>This Inner Loop Header: Depth=1
	v_sub_nc_u32_e32 v3, 0, v1
	v_ashrrev_i32_e32 v4, 31, v1
	v_max_i32_e32 v3, v1, v3
	v_xor_b32_e32 v4, s24, v4
	v_mul_hi_u32 v5, v3, v2
	v_mul_lo_u32 v6, v5, s22
	v_add_nc_u32_e32 v7, 1, v5
	v_sub_nc_u32_e32 v3, v3, v6
	v_subrev_nc_u32_e32 v6, s22, v3
	v_cmp_le_u32_e32 vcc_lo, s22, v3
	v_cndmask_b32_e32 v5, v5, v7, vcc_lo
	v_cndmask_b32_e32 v3, v3, v6, vcc_lo
	v_add_nc_u32_e32 v6, 1, v5
	v_cmp_le_u32_e32 vcc_lo, s22, v3
	v_cndmask_b32_e32 v3, v5, v6, vcc_lo
	v_xor_b32_e32 v3, v3, v4
	v_sub_nc_u32_e32 v5, v3, v4
	v_ashrrev_i32_e32 v7, 31, v5
	v_mad_u64_u32 v[3:4], null, s26, v5, v[1:2]
	v_mul_lo_u32 v8, s13, v5
	v_mad_u64_u32 v[5:6], null, s12, v5, 0
	v_mul_lo_u32 v7, s12, v7
	v_add_nc_u32_e32 v1, s23, v1
	v_ashrrev_i32_e32 v4, 31, v3
	v_add3_u32 v6, v6, v7, v8
	v_lshlrev_b64 v[3:4], 1, v[3:4]
	v_lshlrev_b64 v[5:6], 1, v[5:6]
	v_add_co_u32 v7, vcc_lo, s18, v3
	v_add_co_ci_u32_e64 v8, null, s19, v4, vcc_lo
	v_add_co_u32 v9, vcc_lo, s14, v3
	v_add_co_ci_u32_e64 v10, null, s17, v4, vcc_lo
	v_add_co_u32 v5, vcc_lo, s8, v5
	v_add_co_ci_u32_e64 v6, null, s9, v6, vcc_lo
	v_add_co_u32 v3, vcc_lo, v5, v3
	v_add_co_ci_u32_e64 v4, null, v6, v4, vcc_lo
	v_add_co_u32 v5, vcc_lo, v3, s2
	v_add_co_ci_u32_e64 v6, null, s3, v4, vcc_lo
	s_clause 0x1
	global_load_ushort v7, v[7:8], off
	global_load_ushort v8, v[9:10], off
	s_clause 0x1
	global_load_ushort v9, v[3:4], off
	global_load_ushort v10, v[5:6], off
	v_cmp_le_i32_e32 vcc_lo, s20, v1
	s_or_b32 s25, vcc_lo, s25
	s_waitcnt vmcnt(0)
	v_mul_f16_e32 v11, v8, v10
	v_mul_f16_e32 v10, v7, v10
	v_fma_f16 v7, v7, v9, -v11
	v_fmac_f16_e32 v10, v8, v9
	global_store_short v[3:4], v7, off
	global_store_short v[5:6], v10, off
	s_andn2_b32 exec_lo, exec_lo, s25
	s_cbranch_execnz .LBB2_2
.LBB2_3:
	s_or_b32 exec_lo, exec_lo, s21
	s_cmp_lg_u64 s[0:1], 0
	s_cbranch_scc0 .LBB2_7
; %bb.4:
	s_mul_i32 s8, s15, s16
	s_mov_b32 s9, exec_lo
	v_cmpx_gt_i32_e64 s8, v0
	s_cbranch_execz .LBB2_7
; %bb.5:
	s_mul_i32 s7, s10, s7
	s_mul_hi_u32 s9, s10, s6
	s_load_dword s4, s[4:5], 0x5c
	s_add_i32 s7, s9, s7
	s_mul_i32 s9, s11, s6
	s_mul_i32 s6, s10, s6
	s_add_i32 s7, s7, s9
	s_lshl_b64 s[6:7], s[6:7], 1
	s_add_u32 s0, s0, s6
	s_addc_u32 s1, s1, s7
	s_abs_i32 s6, s16
	s_mov_b32 s7, 0
	v_cvt_f32_u32_e32 v1, s6
	s_sub_i32 s5, 0, s6
	s_sub_i32 s9, 0, s16
	v_rcp_iflag_f32_e32 v1, v1
	s_waitcnt lgkmcnt(0)
	s_and_b32 s4, s4, 0xffff
	v_mul_f32_e32 v1, 0x4f7ffffe, v1
	v_cvt_u32_f32_e32 v1, v1
	v_mul_lo_u32 v2, s5, v1
	s_ashr_i32 s5, s16, 31
	v_mul_hi_u32 v2, v1, v2
	v_add_nc_u32_e32 v1, v1, v2
.LBB2_6:                                ; =>This Inner Loop Header: Depth=1
	v_sub_nc_u32_e32 v2, 0, v0
	v_ashrrev_i32_e32 v3, 31, v0
	v_max_i32_e32 v2, v0, v2
	v_xor_b32_e32 v3, s5, v3
	v_mul_hi_u32 v4, v2, v1
	v_mul_lo_u32 v5, v4, s6
	v_add_nc_u32_e32 v6, 1, v4
	v_sub_nc_u32_e32 v2, v2, v5
	v_subrev_nc_u32_e32 v5, s6, v2
	v_cmp_le_u32_e32 vcc_lo, s6, v2
	v_cndmask_b32_e32 v4, v4, v6, vcc_lo
	v_cndmask_b32_e32 v2, v2, v5, vcc_lo
	v_add_nc_u32_e32 v5, 1, v4
	v_cmp_le_u32_e32 vcc_lo, s6, v2
	v_cndmask_b32_e32 v2, v4, v5, vcc_lo
	v_xor_b32_e32 v2, v2, v3
	v_sub_nc_u32_e32 v4, v2, v3
	v_ashrrev_i32_e32 v6, 31, v4
	v_mad_u64_u32 v[2:3], null, s9, v4, v[0:1]
	v_mul_lo_u32 v7, s13, v4
	v_mad_u64_u32 v[4:5], null, s12, v4, 0
	v_mul_lo_u32 v6, s12, v6
	v_add_nc_u32_e32 v0, s4, v0
	v_ashrrev_i32_e32 v3, 31, v2
	v_add3_u32 v5, v5, v6, v7
	v_lshlrev_b64 v[2:3], 1, v[2:3]
	v_lshlrev_b64 v[4:5], 1, v[4:5]
	v_add_co_u32 v6, vcc_lo, s18, v2
	v_add_co_ci_u32_e64 v7, null, s19, v3, vcc_lo
	v_add_co_u32 v8, vcc_lo, s14, v2
	v_add_co_ci_u32_e64 v9, null, s17, v3, vcc_lo
	;; [unrolled: 2-line block ×5, first 2 shown]
	s_clause 0x1
	global_load_ushort v6, v[6:7], off
	global_load_ushort v7, v[8:9], off
	s_clause 0x1
	global_load_ushort v8, v[2:3], off
	global_load_ushort v9, v[4:5], off
	v_cmp_le_i32_e32 vcc_lo, s8, v0
	s_or_b32 s7, vcc_lo, s7
	s_waitcnt vmcnt(0)
	v_mul_f16_e32 v10, v7, v9
	v_mul_f16_e32 v9, v6, v9
	v_fma_f16 v6, v6, v8, -v10
	v_fmac_f16_e32 v9, v7, v8
	global_store_short v[2:3], v6, off
	global_store_short v[4:5], v9, off
	s_andn2_b32 exec_lo, exec_lo, s7
	s_cbranch_execnz .LBB2_6
.LBB2_7:
	s_endpgm
	.section	.rodata,"a",@progbits
	.p2align	6, 0x0
	.amdhsa_kernel _ZN4vllm23rotary_embedding_kernelIN3c104HalfELb1EEEvPKlPT_S6_PKS5_illliii
		.amdhsa_group_segment_fixed_size 0
		.amdhsa_private_segment_fixed_size 0
		.amdhsa_kernarg_size 336
		.amdhsa_user_sgpr_count 6
		.amdhsa_user_sgpr_private_segment_buffer 1
		.amdhsa_user_sgpr_dispatch_ptr 0
		.amdhsa_user_sgpr_queue_ptr 0
		.amdhsa_user_sgpr_kernarg_segment_ptr 1
		.amdhsa_user_sgpr_dispatch_id 0
		.amdhsa_user_sgpr_flat_scratch_init 0
		.amdhsa_user_sgpr_private_segment_size 0
		.amdhsa_wavefront_size32 1
		.amdhsa_uses_dynamic_stack 0
		.amdhsa_system_sgpr_private_segment_wavefront_offset 0
		.amdhsa_system_sgpr_workgroup_id_x 1
		.amdhsa_system_sgpr_workgroup_id_y 0
		.amdhsa_system_sgpr_workgroup_id_z 0
		.amdhsa_system_sgpr_workgroup_info 0
		.amdhsa_system_vgpr_workitem_id 0
		.amdhsa_next_free_vgpr 12
		.amdhsa_next_free_sgpr 27
		.amdhsa_reserve_vcc 1
		.amdhsa_reserve_flat_scratch 0
		.amdhsa_float_round_mode_32 0
		.amdhsa_float_round_mode_16_64 0
		.amdhsa_float_denorm_mode_32 3
		.amdhsa_float_denorm_mode_16_64 3
		.amdhsa_dx10_clamp 1
		.amdhsa_ieee_mode 1
		.amdhsa_fp16_overflow 0
		.amdhsa_workgroup_processor_mode 1
		.amdhsa_memory_ordered 1
		.amdhsa_forward_progress 1
		.amdhsa_shared_vgpr_count 0
		.amdhsa_exception_fp_ieee_invalid_op 0
		.amdhsa_exception_fp_denorm_src 0
		.amdhsa_exception_fp_ieee_div_zero 0
		.amdhsa_exception_fp_ieee_overflow 0
		.amdhsa_exception_fp_ieee_underflow 0
		.amdhsa_exception_fp_ieee_inexact 0
		.amdhsa_exception_int_div_zero 0
	.end_amdhsa_kernel
	.section	.text._ZN4vllm23rotary_embedding_kernelIN3c104HalfELb1EEEvPKlPT_S6_PKS5_illliii,"axG",@progbits,_ZN4vllm23rotary_embedding_kernelIN3c104HalfELb1EEEvPKlPT_S6_PKS5_illliii,comdat
.Lfunc_end2:
	.size	_ZN4vllm23rotary_embedding_kernelIN3c104HalfELb1EEEvPKlPT_S6_PKS5_illliii, .Lfunc_end2-_ZN4vllm23rotary_embedding_kernelIN3c104HalfELb1EEEvPKlPT_S6_PKS5_illliii
                                        ; -- End function
	.set _ZN4vllm23rotary_embedding_kernelIN3c104HalfELb1EEEvPKlPT_S6_PKS5_illliii.num_vgpr, 12
	.set _ZN4vllm23rotary_embedding_kernelIN3c104HalfELb1EEEvPKlPT_S6_PKS5_illliii.num_agpr, 0
	.set _ZN4vllm23rotary_embedding_kernelIN3c104HalfELb1EEEvPKlPT_S6_PKS5_illliii.numbered_sgpr, 27
	.set _ZN4vllm23rotary_embedding_kernelIN3c104HalfELb1EEEvPKlPT_S6_PKS5_illliii.num_named_barrier, 0
	.set _ZN4vllm23rotary_embedding_kernelIN3c104HalfELb1EEEvPKlPT_S6_PKS5_illliii.private_seg_size, 0
	.set _ZN4vllm23rotary_embedding_kernelIN3c104HalfELb1EEEvPKlPT_S6_PKS5_illliii.uses_vcc, 1
	.set _ZN4vllm23rotary_embedding_kernelIN3c104HalfELb1EEEvPKlPT_S6_PKS5_illliii.uses_flat_scratch, 0
	.set _ZN4vllm23rotary_embedding_kernelIN3c104HalfELb1EEEvPKlPT_S6_PKS5_illliii.has_dyn_sized_stack, 0
	.set _ZN4vllm23rotary_embedding_kernelIN3c104HalfELb1EEEvPKlPT_S6_PKS5_illliii.has_recursion, 0
	.set _ZN4vllm23rotary_embedding_kernelIN3c104HalfELb1EEEvPKlPT_S6_PKS5_illliii.has_indirect_call, 0
	.section	.AMDGPU.csdata,"",@progbits
; Kernel info:
; codeLenInByte = 1076
; TotalNumSgprs: 29
; NumVgprs: 12
; ScratchSize: 0
; MemoryBound: 0
; FloatMode: 240
; IeeeMode: 1
; LDSByteSize: 0 bytes/workgroup (compile time only)
; SGPRBlocks: 0
; VGPRBlocks: 1
; NumSGPRsForWavesPerEU: 29
; NumVGPRsForWavesPerEU: 12
; Occupancy: 16
; WaveLimiterHint : 1
; COMPUTE_PGM_RSRC2:SCRATCH_EN: 0
; COMPUTE_PGM_RSRC2:USER_SGPR: 6
; COMPUTE_PGM_RSRC2:TRAP_HANDLER: 0
; COMPUTE_PGM_RSRC2:TGID_X_EN: 1
; COMPUTE_PGM_RSRC2:TGID_Y_EN: 0
; COMPUTE_PGM_RSRC2:TGID_Z_EN: 0
; COMPUTE_PGM_RSRC2:TIDIG_COMP_CNT: 0
	.section	.text._ZN4vllm23rotary_embedding_kernelIN3c104HalfELb0EEEvPKlPT_S6_PKS5_illliii,"axG",@progbits,_ZN4vllm23rotary_embedding_kernelIN3c104HalfELb0EEEvPKlPT_S6_PKS5_illliii,comdat
	.protected	_ZN4vllm23rotary_embedding_kernelIN3c104HalfELb0EEEvPKlPT_S6_PKS5_illliii ; -- Begin function _ZN4vllm23rotary_embedding_kernelIN3c104HalfELb0EEEvPKlPT_S6_PKS5_illliii
	.globl	_ZN4vllm23rotary_embedding_kernelIN3c104HalfELb0EEEvPKlPT_S6_PKS5_illliii
	.p2align	8
	.type	_ZN4vllm23rotary_embedding_kernelIN3c104HalfELb0EEEvPKlPT_S6_PKS5_illliii,@function
_ZN4vllm23rotary_embedding_kernelIN3c104HalfELb0EEEvPKlPT_S6_PKS5_illliii: ; @_ZN4vllm23rotary_embedding_kernelIN3c104HalfELb0EEEvPKlPT_S6_PKS5_illliii
; %bb.0:
	s_clause 0x1
	s_load_dword s18, s[4:5], 0x20
	s_load_dwordx2 s[8:9], s[4:5], 0x0
	s_ashr_i32 s7, s6, 31
	s_load_dwordx4 s[0:3], s[4:5], 0x10
	s_lshl_b64 s[10:11], s[6:7], 3
	s_waitcnt lgkmcnt(0)
	s_ashr_i32 s19, s18, 31
	s_add_u32 s8, s8, s10
	s_addc_u32 s9, s9, s11
	s_load_dwordx2 s[16:17], s[8:9], 0x0
	s_load_dwordx8 s[8:15], s[4:5], 0x28
	s_waitcnt lgkmcnt(0)
	s_mul_i32 s19, s16, s19
	s_mul_hi_u32 s20, s16, s18
	s_mul_i32 s17, s17, s18
	s_add_i32 s19, s20, s19
	s_mul_i32 s16, s16, s18
	s_add_i32 s17, s19, s17
	s_lshl_b64 s[16:17], s[16:17], 1
	s_add_u32 s16, s2, s16
	s_addc_u32 s17, s3, s17
	s_lshr_b32 s2, s18, 31
	s_add_i32 s18, s18, s2
	s_ashr_i32 s2, s18, 1
	s_ashr_i32 s3, s2, 31
	s_mul_i32 s19, s14, s2
	s_lshl_b64 s[20:21], s[2:3], 1
	s_add_u32 s14, s16, s20
	s_addc_u32 s18, s17, s21
	s_mov_b32 s20, exec_lo
	v_cmpx_gt_i32_e64 s19, v0
	s_cbranch_execz .LBB3_3
; %bb.1:
	s_load_dwordx2 s[22:23], s[4:5], 0x8
	s_mul_i32 s21, s8, s7
	s_mul_hi_u32 s24, s8, s6
	s_mul_i32 s9, s9, s6
	s_add_i32 s21, s24, s21
	s_mul_i32 s8, s8, s6
	s_add_i32 s9, s21, s9
	s_load_dword s24, s[4:5], 0x5c
	s_lshl_b64 s[8:9], s[8:9], 1
	s_waitcnt lgkmcnt(0)
	s_add_u32 s8, s22, s8
	s_addc_u32 s9, s23, s9
	s_abs_i32 s21, s2
	s_sub_i32 s26, 0, s2
	v_cvt_f32_u32_e32 v1, s21
	s_sub_i32 s22, 0, s21
	s_and_b32 s23, s24, 0xffff
	s_lshl_b32 s24, s2, 1
	v_rcp_iflag_f32_e32 v1, v1
	s_sub_i32 s24, 0, s24
	s_lshl_b32 s25, s23, 1
	v_mul_f32_e32 v1, 0x4f7ffffe, v1
	v_cvt_u32_f32_e32 v2, v1
	v_mul_lo_u32 v1, s22, v2
	s_mov_b32 s22, 0
	v_mul_hi_u32 v3, v2, v1
	v_lshlrev_b32_e32 v1, 1, v0
	v_add_nc_u32_e32 v3, v2, v3
	v_mov_b32_e32 v2, v0
.LBB3_2:                                ; =>This Inner Loop Header: Depth=1
	v_sub_nc_u32_e32 v4, 0, v2
	v_ashrrev_i32_e32 v5, 31, v2
	v_max_i32_e32 v4, v2, v4
	v_xor_b32_e32 v5, s3, v5
	v_mul_hi_u32 v6, v4, v3
	v_mul_lo_u32 v7, v6, s21
	v_add_nc_u32_e32 v8, 1, v6
	v_sub_nc_u32_e32 v4, v4, v7
	v_subrev_nc_u32_e32 v7, s21, v4
	v_cmp_le_u32_e32 vcc_lo, s21, v4
	v_cndmask_b32_e32 v6, v6, v8, vcc_lo
	v_cndmask_b32_e32 v4, v4, v7, vcc_lo
	v_add_nc_u32_e32 v7, 1, v6
	v_cmp_le_u32_e32 vcc_lo, s21, v4
	v_cndmask_b32_e32 v4, v6, v7, vcc_lo
	v_xor_b32_e32 v4, v4, v5
	v_sub_nc_u32_e32 v8, v4, v5
	v_ashrrev_i32_e32 v10, 31, v8
	v_mad_u64_u32 v[4:5], null, s26, v8, v[2:3]
	v_mul_lo_u32 v11, s13, v8
	v_mad_u64_u32 v[6:7], null, s12, v8, 0
	v_mul_lo_u32 v10, s12, v10
	v_mad_u64_u32 v[8:9], null, s24, v8, v[1:2]
	v_ashrrev_i32_e32 v5, 31, v4
	v_add_nc_u32_e32 v2, s23, v2
	v_add_nc_u32_e32 v1, s25, v1
	v_add3_u32 v7, v7, v10, v11
	v_lshlrev_b64 v[4:5], 1, v[4:5]
	v_ashrrev_i32_e32 v9, 31, v8
	v_lshlrev_b64 v[6:7], 1, v[6:7]
	v_add_co_u32 v10, vcc_lo, s16, v4
	v_add_co_ci_u32_e64 v11, null, s17, v5, vcc_lo
	v_add_co_u32 v4, vcc_lo, s14, v4
	v_lshlrev_b64 v[8:9], 1, v[8:9]
	v_add_co_ci_u32_e64 v5, null, s18, v5, vcc_lo
	v_add_co_u32 v6, vcc_lo, s8, v6
	v_add_co_ci_u32_e64 v7, null, s9, v7, vcc_lo
	v_add_co_u32 v6, vcc_lo, v6, v8
	v_add_co_ci_u32_e64 v7, null, v7, v9, vcc_lo
	s_clause 0x1
	global_load_ushort v8, v[10:11], off
	global_load_ushort v4, v[4:5], off
	global_load_dword v5, v[6:7], off
	v_cmp_le_i32_e32 vcc_lo, s19, v2
	s_or_b32 s22, vcc_lo, s22
	s_waitcnt vmcnt(0)
	v_pk_mul_f16 v4, v4, v5 op_sel:[0,1] op_sel_hi:[0,0]
	v_pk_fma_f16 v9, v8, v5, v4 neg_lo:[0,0,1] neg_hi:[0,0,1]
	v_pk_fma_f16 v4, v8, v5, v4 op_sel_hi:[0,1,1]
	v_bfi_b32 v4, 0xffff, v9, v4
	global_store_dword v[6:7], v4, off
	s_andn2_b32 exec_lo, exec_lo, s22
	s_cbranch_execnz .LBB3_2
.LBB3_3:
	s_or_b32 exec_lo, exec_lo, s20
	s_cmp_lg_u64 s[0:1], 0
	s_cbranch_scc0 .LBB3_7
; %bb.4:
	s_mul_i32 s8, s15, s2
	s_mov_b32 s9, exec_lo
	v_cmpx_gt_i32_e64 s8, v0
	s_cbranch_execz .LBB3_7
; %bb.5:
	s_mul_i32 s7, s10, s7
	s_mul_hi_u32 s9, s10, s6
	s_load_dword s5, s[4:5], 0x5c
	s_add_i32 s7, s9, s7
	s_mul_i32 s9, s11, s6
	s_mul_i32 s6, s10, s6
	s_add_i32 s7, s7, s9
	s_lshl_b64 s[6:7], s[6:7], 1
	s_add_u32 s0, s0, s6
	s_addc_u32 s1, s1, s7
	s_abs_i32 s6, s2
	s_lshl_b32 s7, s2, 1
	v_cvt_f32_u32_e32 v1, s6
	s_sub_i32 s4, 0, s6
	s_sub_i32 s7, 0, s7
	;; [unrolled: 1-line block ×3, first 2 shown]
	v_rcp_iflag_f32_e32 v1, v1
	s_waitcnt lgkmcnt(0)
	s_and_b32 s5, s5, 0xffff
	s_lshl_b32 s9, s5, 1
	v_mul_f32_e32 v1, 0x4f7ffffe, v1
	v_cvt_u32_f32_e32 v1, v1
	v_mul_lo_u32 v2, s4, v1
	s_mov_b32 s4, 0
	v_mul_hi_u32 v2, v1, v2
	v_add_nc_u32_e32 v2, v1, v2
	v_lshlrev_b32_e32 v1, 1, v0
.LBB3_6:                                ; =>This Inner Loop Header: Depth=1
	v_sub_nc_u32_e32 v3, 0, v0
	v_ashrrev_i32_e32 v4, 31, v0
	v_max_i32_e32 v3, v0, v3
	v_xor_b32_e32 v4, s3, v4
	v_mul_hi_u32 v5, v3, v2
	v_mul_lo_u32 v6, v5, s6
	v_add_nc_u32_e32 v7, 1, v5
	v_sub_nc_u32_e32 v3, v3, v6
	v_subrev_nc_u32_e32 v6, s6, v3
	v_cmp_le_u32_e32 vcc_lo, s6, v3
	v_cndmask_b32_e32 v5, v5, v7, vcc_lo
	v_cndmask_b32_e32 v3, v3, v6, vcc_lo
	v_add_nc_u32_e32 v6, 1, v5
	v_cmp_le_u32_e32 vcc_lo, s6, v3
	v_cndmask_b32_e32 v3, v5, v6, vcc_lo
	v_xor_b32_e32 v3, v3, v4
	v_sub_nc_u32_e32 v7, v3, v4
	v_ashrrev_i32_e32 v9, 31, v7
	v_mad_u64_u32 v[3:4], null, s2, v7, v[0:1]
	v_mul_lo_u32 v10, s13, v7
	v_mad_u64_u32 v[5:6], null, s12, v7, 0
	v_mul_lo_u32 v9, s12, v9
	v_mad_u64_u32 v[7:8], null, s7, v7, v[1:2]
	v_ashrrev_i32_e32 v4, 31, v3
	v_add_nc_u32_e32 v0, s5, v0
	v_add_nc_u32_e32 v1, s9, v1
	v_add3_u32 v6, v6, v9, v10
	v_lshlrev_b64 v[3:4], 1, v[3:4]
	v_ashrrev_i32_e32 v8, 31, v7
	v_lshlrev_b64 v[5:6], 1, v[5:6]
	v_add_co_u32 v9, vcc_lo, s16, v3
	v_add_co_ci_u32_e64 v10, null, s17, v4, vcc_lo
	v_add_co_u32 v3, vcc_lo, s14, v3
	v_lshlrev_b64 v[7:8], 1, v[7:8]
	v_add_co_ci_u32_e64 v4, null, s18, v4, vcc_lo
	v_add_co_u32 v5, vcc_lo, s0, v5
	v_add_co_ci_u32_e64 v6, null, s1, v6, vcc_lo
	v_add_co_u32 v5, vcc_lo, v5, v7
	v_add_co_ci_u32_e64 v6, null, v6, v8, vcc_lo
	s_clause 0x1
	global_load_ushort v7, v[9:10], off
	global_load_ushort v3, v[3:4], off
	global_load_dword v4, v[5:6], off
	v_cmp_le_i32_e32 vcc_lo, s8, v0
	s_or_b32 s4, vcc_lo, s4
	s_waitcnt vmcnt(0)
	v_pk_mul_f16 v3, v3, v4 op_sel:[0,1] op_sel_hi:[0,0]
	v_pk_fma_f16 v8, v7, v4, v3 neg_lo:[0,0,1] neg_hi:[0,0,1]
	v_pk_fma_f16 v3, v7, v4, v3 op_sel_hi:[0,1,1]
	v_bfi_b32 v3, 0xffff, v8, v3
	global_store_dword v[5:6], v3, off
	s_andn2_b32 exec_lo, exec_lo, s4
	s_cbranch_execnz .LBB3_6
.LBB3_7:
	s_endpgm
	.section	.rodata,"a",@progbits
	.p2align	6, 0x0
	.amdhsa_kernel _ZN4vllm23rotary_embedding_kernelIN3c104HalfELb0EEEvPKlPT_S6_PKS5_illliii
		.amdhsa_group_segment_fixed_size 0
		.amdhsa_private_segment_fixed_size 0
		.amdhsa_kernarg_size 336
		.amdhsa_user_sgpr_count 6
		.amdhsa_user_sgpr_private_segment_buffer 1
		.amdhsa_user_sgpr_dispatch_ptr 0
		.amdhsa_user_sgpr_queue_ptr 0
		.amdhsa_user_sgpr_kernarg_segment_ptr 1
		.amdhsa_user_sgpr_dispatch_id 0
		.amdhsa_user_sgpr_flat_scratch_init 0
		.amdhsa_user_sgpr_private_segment_size 0
		.amdhsa_wavefront_size32 1
		.amdhsa_uses_dynamic_stack 0
		.amdhsa_system_sgpr_private_segment_wavefront_offset 0
		.amdhsa_system_sgpr_workgroup_id_x 1
		.amdhsa_system_sgpr_workgroup_id_y 0
		.amdhsa_system_sgpr_workgroup_id_z 0
		.amdhsa_system_sgpr_workgroup_info 0
		.amdhsa_system_vgpr_workitem_id 0
		.amdhsa_next_free_vgpr 12
		.amdhsa_next_free_sgpr 27
		.amdhsa_reserve_vcc 1
		.amdhsa_reserve_flat_scratch 0
		.amdhsa_float_round_mode_32 0
		.amdhsa_float_round_mode_16_64 0
		.amdhsa_float_denorm_mode_32 3
		.amdhsa_float_denorm_mode_16_64 3
		.amdhsa_dx10_clamp 1
		.amdhsa_ieee_mode 1
		.amdhsa_fp16_overflow 0
		.amdhsa_workgroup_processor_mode 1
		.amdhsa_memory_ordered 1
		.amdhsa_forward_progress 1
		.amdhsa_shared_vgpr_count 0
		.amdhsa_exception_fp_ieee_invalid_op 0
		.amdhsa_exception_fp_denorm_src 0
		.amdhsa_exception_fp_ieee_div_zero 0
		.amdhsa_exception_fp_ieee_overflow 0
		.amdhsa_exception_fp_ieee_underflow 0
		.amdhsa_exception_fp_ieee_inexact 0
		.amdhsa_exception_int_div_zero 0
	.end_amdhsa_kernel
	.section	.text._ZN4vllm23rotary_embedding_kernelIN3c104HalfELb0EEEvPKlPT_S6_PKS5_illliii,"axG",@progbits,_ZN4vllm23rotary_embedding_kernelIN3c104HalfELb0EEEvPKlPT_S6_PKS5_illliii,comdat
.Lfunc_end3:
	.size	_ZN4vllm23rotary_embedding_kernelIN3c104HalfELb0EEEvPKlPT_S6_PKS5_illliii, .Lfunc_end3-_ZN4vllm23rotary_embedding_kernelIN3c104HalfELb0EEEvPKlPT_S6_PKS5_illliii
                                        ; -- End function
	.set _ZN4vllm23rotary_embedding_kernelIN3c104HalfELb0EEEvPKlPT_S6_PKS5_illliii.num_vgpr, 12
	.set _ZN4vllm23rotary_embedding_kernelIN3c104HalfELb0EEEvPKlPT_S6_PKS5_illliii.num_agpr, 0
	.set _ZN4vllm23rotary_embedding_kernelIN3c104HalfELb0EEEvPKlPT_S6_PKS5_illliii.numbered_sgpr, 27
	.set _ZN4vllm23rotary_embedding_kernelIN3c104HalfELb0EEEvPKlPT_S6_PKS5_illliii.num_named_barrier, 0
	.set _ZN4vllm23rotary_embedding_kernelIN3c104HalfELb0EEEvPKlPT_S6_PKS5_illliii.private_seg_size, 0
	.set _ZN4vllm23rotary_embedding_kernelIN3c104HalfELb0EEEvPKlPT_S6_PKS5_illliii.uses_vcc, 1
	.set _ZN4vllm23rotary_embedding_kernelIN3c104HalfELb0EEEvPKlPT_S6_PKS5_illliii.uses_flat_scratch, 0
	.set _ZN4vllm23rotary_embedding_kernelIN3c104HalfELb0EEEvPKlPT_S6_PKS5_illliii.has_dyn_sized_stack, 0
	.set _ZN4vllm23rotary_embedding_kernelIN3c104HalfELb0EEEvPKlPT_S6_PKS5_illliii.has_recursion, 0
	.set _ZN4vllm23rotary_embedding_kernelIN3c104HalfELb0EEEvPKlPT_S6_PKS5_illliii.has_indirect_call, 0
	.section	.AMDGPU.csdata,"",@progbits
; Kernel info:
; codeLenInByte = 1108
; TotalNumSgprs: 29
; NumVgprs: 12
; ScratchSize: 0
; MemoryBound: 0
; FloatMode: 240
; IeeeMode: 1
; LDSByteSize: 0 bytes/workgroup (compile time only)
; SGPRBlocks: 0
; VGPRBlocks: 1
; NumSGPRsForWavesPerEU: 29
; NumVGPRsForWavesPerEU: 12
; Occupancy: 16
; WaveLimiterHint : 1
; COMPUTE_PGM_RSRC2:SCRATCH_EN: 0
; COMPUTE_PGM_RSRC2:USER_SGPR: 6
; COMPUTE_PGM_RSRC2:TRAP_HANDLER: 0
; COMPUTE_PGM_RSRC2:TGID_X_EN: 1
; COMPUTE_PGM_RSRC2:TGID_Y_EN: 0
; COMPUTE_PGM_RSRC2:TGID_Z_EN: 0
; COMPUTE_PGM_RSRC2:TIDIG_COMP_CNT: 0
	.section	.text._ZN4vllm23rotary_embedding_kernelIN3c108BFloat16ELb1EEEvPKlPT_S6_PKS5_illliii,"axG",@progbits,_ZN4vllm23rotary_embedding_kernelIN3c108BFloat16ELb1EEEvPKlPT_S6_PKS5_illliii,comdat
	.protected	_ZN4vllm23rotary_embedding_kernelIN3c108BFloat16ELb1EEEvPKlPT_S6_PKS5_illliii ; -- Begin function _ZN4vllm23rotary_embedding_kernelIN3c108BFloat16ELb1EEEvPKlPT_S6_PKS5_illliii
	.globl	_ZN4vllm23rotary_embedding_kernelIN3c108BFloat16ELb1EEEvPKlPT_S6_PKS5_illliii
	.p2align	8
	.type	_ZN4vllm23rotary_embedding_kernelIN3c108BFloat16ELb1EEEvPKlPT_S6_PKS5_illliii,@function
_ZN4vllm23rotary_embedding_kernelIN3c108BFloat16ELb1EEEvPKlPT_S6_PKS5_illliii: ; @_ZN4vllm23rotary_embedding_kernelIN3c108BFloat16ELb1EEEvPKlPT_S6_PKS5_illliii
; %bb.0:
	s_clause 0x1
	s_load_dword s21, s[4:5], 0x20
	s_load_dwordx2 s[0:1], s[4:5], 0x0
	s_ashr_i32 s7, s6, 31
	s_load_dwordx4 s[16:19], s[4:5], 0x10
	s_lshl_b64 s[2:3], s[6:7], 3
	s_mov_b32 s22, exec_lo
	s_waitcnt lgkmcnt(0)
	s_ashr_i32 s20, s21, 31
	s_add_u32 s0, s0, s2
	s_addc_u32 s1, s1, s3
	s_load_dwordx2 s[0:1], s[0:1], 0x0
	s_load_dwordx8 s[8:15], s[4:5], 0x28
	s_waitcnt lgkmcnt(0)
	s_mul_i32 s2, s0, s20
	s_mul_hi_u32 s3, s0, s21
	s_mul_i32 s1, s1, s21
	s_add_i32 s2, s3, s2
	s_mul_i32 s0, s0, s21
	s_add_i32 s1, s2, s1
	s_lshl_b64 s[2:3], s[0:1], 1
	s_add_u32 s1, s18, s2
	s_addc_u32 s20, s19, s3
	s_lshr_b32 s0, s21, 31
	s_add_i32 s21, s21, s0
	s_ashr_i32 s18, s21, 1
	s_ashr_i32 s19, s18, 31
	s_mul_i32 s21, s14, s18
	s_lshl_b64 s[2:3], s[18:19], 1
	s_add_u32 s14, s1, s2
	s_addc_u32 s19, s20, s3
	v_cmpx_gt_i32_e64 s21, v0
	s_cbranch_execz .LBB4_3
; %bb.1:
	s_load_dwordx2 s[24:25], s[4:5], 0x8
	s_mul_i32 s0, s8, s7
	s_mul_hi_u32 s23, s8, s6
	s_mul_i32 s9, s9, s6
	s_add_i32 s0, s23, s0
	s_mul_i32 s8, s8, s6
	s_add_i32 s9, s0, s9
	s_load_dword s0, s[4:5], 0x5c
	s_lshl_b64 s[8:9], s[8:9], 1
	v_mov_b32_e32 v3, 0x7fc0
	s_mov_b32 s26, 0
	s_waitcnt lgkmcnt(0)
	s_add_u32 s8, s24, s8
	s_addc_u32 s9, s25, s9
	s_abs_i32 s23, s18
	s_ashr_i32 s25, s18, 31
	v_cvt_f32_u32_e32 v1, s23
	s_sub_i32 s24, 0, s23
	s_sub_i32 s27, 0, s18
	v_rcp_iflag_f32_e32 v1, v1
	v_mul_f32_e32 v1, 0x4f7ffffe, v1
	v_cvt_u32_f32_e32 v1, v1
	v_mul_lo_u32 v2, s24, v1
	s_and_b32 s24, s0, 0xffff
	v_mul_hi_u32 v4, v1, v2
	v_mov_b32_e32 v2, 1
	v_add_nc_u32_e32 v4, v1, v4
	v_mov_b32_e32 v1, v0
.LBB4_2:                                ; =>This Inner Loop Header: Depth=1
	v_sub_nc_u32_e32 v5, 0, v1
	v_ashrrev_i32_e32 v6, 31, v1
	v_max_i32_e32 v5, v1, v5
	v_xor_b32_e32 v6, s25, v6
	v_mul_hi_u32 v7, v5, v4
	v_mul_lo_u32 v8, v7, s23
	v_add_nc_u32_e32 v9, 1, v7
	v_sub_nc_u32_e32 v5, v5, v8
	v_subrev_nc_u32_e32 v8, s23, v5
	v_cmp_le_u32_e32 vcc_lo, s23, v5
	v_cndmask_b32_e32 v7, v7, v9, vcc_lo
	v_cndmask_b32_e32 v5, v5, v8, vcc_lo
	v_add_nc_u32_e32 v8, 1, v7
	v_cmp_le_u32_e32 vcc_lo, s23, v5
	v_cndmask_b32_e32 v5, v7, v8, vcc_lo
	v_xor_b32_e32 v5, v5, v6
	v_sub_nc_u32_e32 v7, v5, v6
	v_ashrrev_i32_e32 v9, 31, v7
	v_mad_u64_u32 v[5:6], null, s27, v7, v[1:2]
	v_mul_lo_u32 v10, s13, v7
	v_mad_u64_u32 v[7:8], null, s12, v7, 0
	v_mul_lo_u32 v9, s12, v9
	v_add_nc_u32_e32 v1, s24, v1
	v_ashrrev_i32_e32 v6, 31, v5
	v_add3_u32 v8, v8, v9, v10
	v_lshlrev_b64 v[5:6], 1, v[5:6]
	v_lshlrev_b64 v[7:8], 1, v[7:8]
	v_add_co_u32 v9, vcc_lo, s1, v5
	v_add_co_ci_u32_e64 v10, null, s20, v6, vcc_lo
	v_add_co_u32 v11, vcc_lo, s14, v5
	v_add_co_ci_u32_e64 v12, null, s19, v6, vcc_lo
	;; [unrolled: 2-line block ×3, first 2 shown]
	s_clause 0x1
	global_load_ushort v9, v[9:10], off
	global_load_ushort v10, v[11:12], off
	v_add_co_u32 v5, vcc_lo, v7, v5
	v_add_co_ci_u32_e64 v6, null, v8, v6, vcc_lo
	v_add_co_u32 v7, vcc_lo, v5, s2
	v_add_co_ci_u32_e64 v8, null, s3, v6, vcc_lo
	s_clause 0x1
	global_load_ushort v11, v[5:6], off
	global_load_ushort v12, v[7:8], off
	s_waitcnt vmcnt(3)
	v_lshlrev_b32_e32 v9, 16, v9
	s_waitcnt vmcnt(2)
	v_lshlrev_b32_e32 v10, 16, v10
	;; [unrolled: 2-line block ×4, first 2 shown]
	v_mul_f32_e32 v13, v9, v11
	v_mul_f32_e32 v11, v10, v11
	;; [unrolled: 1-line block ×4, first 2 shown]
	v_bfe_u32 v14, v13, 16, 1
	v_and_b32_sdwa v12, v11, v2 dst_sel:DWORD dst_unused:UNUSED_PAD src0_sel:WORD_1 src1_sel:DWORD
	v_bfe_u32 v15, v10, 16, 1
	v_and_b32_sdwa v16, v9, v2 dst_sel:DWORD dst_unused:UNUSED_PAD src0_sel:WORD_1 src1_sel:DWORD
	v_cmp_o_f32_e32 vcc_lo, v13, v13
	v_add3_u32 v14, v13, v14, 0x7fff
	v_add3_u32 v12, v11, v12, 0x7fff
	v_add3_u32 v15, v10, v15, 0x7fff
	v_add3_u32 v13, v9, v16, 0x7fff
	v_cmp_o_f32_e64 s0, v11, v11
	v_and_b32_e32 v14, 0xffff0000, v14
	v_and_b32_e32 v12, 0xffff0000, v12
	;; [unrolled: 1-line block ×4, first 2 shown]
	v_cndmask_b32_e32 v14, 0x7fc00000, v14, vcc_lo
	v_cmp_o_f32_e32 vcc_lo, v10, v10
	v_cndmask_b32_e64 v12, 0x7fc00000, v12, s0
	v_cmp_le_i32_e64 s0, s21, v1
	v_cndmask_b32_e32 v10, 0x7fc00000, v11, vcc_lo
	v_cmp_o_f32_e32 vcc_lo, v9, v9
	s_or_b32 s26, s0, s26
	v_sub_f32_e32 v10, v14, v10
	v_cndmask_b32_e32 v9, 0x7fc00000, v13, vcc_lo
	v_bfe_u32 v11, v10, 16, 1
	v_add_f32_e32 v9, v12, v9
	v_add3_u32 v11, v10, v11, 0x7fff
	v_bfe_u32 v12, v9, 16, 1
	v_cmp_o_f32_e32 vcc_lo, v9, v9
	v_lshrrev_b32_e32 v11, 16, v11
	v_add3_u32 v9, v9, v12, 0x7fff
	v_cndmask_b32_sdwa v9, v3, v9, vcc_lo dst_sel:DWORD dst_unused:UNUSED_PAD src0_sel:DWORD src1_sel:WORD_1
	v_cmp_o_f32_e32 vcc_lo, v10, v10
	v_cndmask_b32_e32 v10, 0x7fc0, v11, vcc_lo
	global_store_short v[5:6], v10, off
	global_store_short v[7:8], v9, off
	s_andn2_b32 exec_lo, exec_lo, s26
	s_cbranch_execnz .LBB4_2
.LBB4_3:
	s_or_b32 exec_lo, exec_lo, s22
	s_cmp_lg_u64 s[16:17], 0
	s_cbranch_scc0 .LBB4_7
; %bb.4:
	s_mul_i32 s8, s15, s18
	s_mov_b32 s0, exec_lo
	v_cmpx_gt_i32_e64 s8, v0
	s_cbranch_execz .LBB4_7
; %bb.5:
	s_mul_i32 s0, s10, s7
	s_mul_hi_u32 s7, s10, s6
	s_add_i32 s0, s7, s0
	s_mul_i32 s7, s11, s6
	s_mul_i32 s6, s10, s6
	s_add_i32 s7, s0, s7
	s_load_dword s0, s[4:5], 0x5c
	s_lshl_b64 s[6:7], s[6:7], 1
	s_mov_b32 s10, 0
	s_add_u32 s6, s16, s6
	s_addc_u32 s7, s17, s7
	s_abs_i32 s9, s18
	s_ashr_i32 s5, s18, 31
	v_cvt_f32_u32_e32 v1, s9
	s_sub_i32 s4, 0, s9
	s_sub_i32 s11, 0, s18
	v_rcp_iflag_f32_e32 v1, v1
	v_mul_f32_e32 v1, 0x4f7ffffe, v1
	v_cvt_u32_f32_e32 v2, v1
	v_mul_lo_u32 v1, s4, v2
	s_waitcnt lgkmcnt(0)
	s_and_b32 s4, s0, 0xffff
	v_mul_hi_u32 v3, v2, v1
	v_mov_b32_e32 v1, 1
	v_add_nc_u32_e32 v2, v2, v3
	v_mov_b32_e32 v3, 0x7fc0
.LBB4_6:                                ; =>This Inner Loop Header: Depth=1
	v_sub_nc_u32_e32 v4, 0, v0
	v_ashrrev_i32_e32 v5, 31, v0
	v_max_i32_e32 v4, v0, v4
	v_xor_b32_e32 v5, s5, v5
	v_mul_hi_u32 v6, v4, v2
	v_mul_lo_u32 v7, v6, s9
	v_add_nc_u32_e32 v8, 1, v6
	v_sub_nc_u32_e32 v4, v4, v7
	v_subrev_nc_u32_e32 v7, s9, v4
	v_cmp_le_u32_e32 vcc_lo, s9, v4
	v_cndmask_b32_e32 v6, v6, v8, vcc_lo
	v_cndmask_b32_e32 v4, v4, v7, vcc_lo
	v_add_nc_u32_e32 v7, 1, v6
	v_cmp_le_u32_e32 vcc_lo, s9, v4
	v_cndmask_b32_e32 v4, v6, v7, vcc_lo
	v_xor_b32_e32 v4, v4, v5
	v_sub_nc_u32_e32 v6, v4, v5
	v_ashrrev_i32_e32 v8, 31, v6
	v_mad_u64_u32 v[4:5], null, s11, v6, v[0:1]
	v_mul_lo_u32 v9, s13, v6
	v_mad_u64_u32 v[6:7], null, s12, v6, 0
	v_mul_lo_u32 v8, s12, v8
	v_add_nc_u32_e32 v0, s4, v0
	v_ashrrev_i32_e32 v5, 31, v4
	v_add3_u32 v7, v7, v8, v9
	v_lshlrev_b64 v[4:5], 1, v[4:5]
	v_lshlrev_b64 v[6:7], 1, v[6:7]
	v_add_co_u32 v8, vcc_lo, s1, v4
	v_add_co_ci_u32_e64 v9, null, s20, v5, vcc_lo
	v_add_co_u32 v10, vcc_lo, s14, v4
	v_add_co_ci_u32_e64 v11, null, s19, v5, vcc_lo
	;; [unrolled: 2-line block ×3, first 2 shown]
	s_clause 0x1
	global_load_ushort v8, v[8:9], off
	global_load_ushort v9, v[10:11], off
	v_add_co_u32 v4, vcc_lo, v6, v4
	v_add_co_ci_u32_e64 v5, null, v7, v5, vcc_lo
	v_add_co_u32 v6, vcc_lo, v4, s2
	v_add_co_ci_u32_e64 v7, null, s3, v5, vcc_lo
	s_clause 0x1
	global_load_ushort v10, v[4:5], off
	global_load_ushort v11, v[6:7], off
	s_waitcnt vmcnt(3)
	v_lshlrev_b32_e32 v8, 16, v8
	s_waitcnt vmcnt(2)
	v_lshlrev_b32_e32 v9, 16, v9
	;; [unrolled: 2-line block ×4, first 2 shown]
	v_mul_f32_e32 v12, v8, v10
	v_mul_f32_e32 v10, v9, v10
	;; [unrolled: 1-line block ×4, first 2 shown]
	v_bfe_u32 v13, v12, 16, 1
	v_and_b32_sdwa v11, v10, v1 dst_sel:DWORD dst_unused:UNUSED_PAD src0_sel:WORD_1 src1_sel:DWORD
	v_bfe_u32 v14, v9, 16, 1
	v_and_b32_sdwa v15, v8, v1 dst_sel:DWORD dst_unused:UNUSED_PAD src0_sel:WORD_1 src1_sel:DWORD
	v_cmp_o_f32_e32 vcc_lo, v12, v12
	v_add3_u32 v13, v12, v13, 0x7fff
	v_add3_u32 v11, v10, v11, 0x7fff
	;; [unrolled: 1-line block ×4, first 2 shown]
	v_cmp_o_f32_e64 s0, v10, v10
	v_and_b32_e32 v13, 0xffff0000, v13
	v_and_b32_e32 v11, 0xffff0000, v11
	;; [unrolled: 1-line block ×4, first 2 shown]
	v_cndmask_b32_e32 v13, 0x7fc00000, v13, vcc_lo
	v_cmp_o_f32_e32 vcc_lo, v9, v9
	v_cndmask_b32_e64 v11, 0x7fc00000, v11, s0
	v_cmp_le_i32_e64 s0, s8, v0
	v_cndmask_b32_e32 v9, 0x7fc00000, v10, vcc_lo
	v_cmp_o_f32_e32 vcc_lo, v8, v8
	s_or_b32 s10, s0, s10
	v_sub_f32_e32 v9, v13, v9
	v_cndmask_b32_e32 v8, 0x7fc00000, v12, vcc_lo
	v_bfe_u32 v10, v9, 16, 1
	v_add_f32_e32 v8, v11, v8
	v_add3_u32 v10, v9, v10, 0x7fff
	v_bfe_u32 v11, v8, 16, 1
	v_cmp_o_f32_e32 vcc_lo, v8, v8
	v_lshrrev_b32_e32 v10, 16, v10
	v_add3_u32 v8, v8, v11, 0x7fff
	v_cndmask_b32_sdwa v8, v3, v8, vcc_lo dst_sel:DWORD dst_unused:UNUSED_PAD src0_sel:DWORD src1_sel:WORD_1
	v_cmp_o_f32_e32 vcc_lo, v9, v9
	v_cndmask_b32_e32 v9, 0x7fc0, v10, vcc_lo
	global_store_short v[4:5], v9, off
	global_store_short v[6:7], v8, off
	s_andn2_b32 exec_lo, exec_lo, s10
	s_cbranch_execnz .LBB4_6
.LBB4_7:
	s_endpgm
	.section	.rodata,"a",@progbits
	.p2align	6, 0x0
	.amdhsa_kernel _ZN4vllm23rotary_embedding_kernelIN3c108BFloat16ELb1EEEvPKlPT_S6_PKS5_illliii
		.amdhsa_group_segment_fixed_size 0
		.amdhsa_private_segment_fixed_size 0
		.amdhsa_kernarg_size 336
		.amdhsa_user_sgpr_count 6
		.amdhsa_user_sgpr_private_segment_buffer 1
		.amdhsa_user_sgpr_dispatch_ptr 0
		.amdhsa_user_sgpr_queue_ptr 0
		.amdhsa_user_sgpr_kernarg_segment_ptr 1
		.amdhsa_user_sgpr_dispatch_id 0
		.amdhsa_user_sgpr_flat_scratch_init 0
		.amdhsa_user_sgpr_private_segment_size 0
		.amdhsa_wavefront_size32 1
		.amdhsa_uses_dynamic_stack 0
		.amdhsa_system_sgpr_private_segment_wavefront_offset 0
		.amdhsa_system_sgpr_workgroup_id_x 1
		.amdhsa_system_sgpr_workgroup_id_y 0
		.amdhsa_system_sgpr_workgroup_id_z 0
		.amdhsa_system_sgpr_workgroup_info 0
		.amdhsa_system_vgpr_workitem_id 0
		.amdhsa_next_free_vgpr 17
		.amdhsa_next_free_sgpr 28
		.amdhsa_reserve_vcc 1
		.amdhsa_reserve_flat_scratch 0
		.amdhsa_float_round_mode_32 0
		.amdhsa_float_round_mode_16_64 0
		.amdhsa_float_denorm_mode_32 3
		.amdhsa_float_denorm_mode_16_64 3
		.amdhsa_dx10_clamp 1
		.amdhsa_ieee_mode 1
		.amdhsa_fp16_overflow 0
		.amdhsa_workgroup_processor_mode 1
		.amdhsa_memory_ordered 1
		.amdhsa_forward_progress 1
		.amdhsa_shared_vgpr_count 0
		.amdhsa_exception_fp_ieee_invalid_op 0
		.amdhsa_exception_fp_denorm_src 0
		.amdhsa_exception_fp_ieee_div_zero 0
		.amdhsa_exception_fp_ieee_overflow 0
		.amdhsa_exception_fp_ieee_underflow 0
		.amdhsa_exception_fp_ieee_inexact 0
		.amdhsa_exception_int_div_zero 0
	.end_amdhsa_kernel
	.section	.text._ZN4vllm23rotary_embedding_kernelIN3c108BFloat16ELb1EEEvPKlPT_S6_PKS5_illliii,"axG",@progbits,_ZN4vllm23rotary_embedding_kernelIN3c108BFloat16ELb1EEEvPKlPT_S6_PKS5_illliii,comdat
.Lfunc_end4:
	.size	_ZN4vllm23rotary_embedding_kernelIN3c108BFloat16ELb1EEEvPKlPT_S6_PKS5_illliii, .Lfunc_end4-_ZN4vllm23rotary_embedding_kernelIN3c108BFloat16ELb1EEEvPKlPT_S6_PKS5_illliii
                                        ; -- End function
	.set _ZN4vllm23rotary_embedding_kernelIN3c108BFloat16ELb1EEEvPKlPT_S6_PKS5_illliii.num_vgpr, 17
	.set _ZN4vllm23rotary_embedding_kernelIN3c108BFloat16ELb1EEEvPKlPT_S6_PKS5_illliii.num_agpr, 0
	.set _ZN4vllm23rotary_embedding_kernelIN3c108BFloat16ELb1EEEvPKlPT_S6_PKS5_illliii.numbered_sgpr, 28
	.set _ZN4vllm23rotary_embedding_kernelIN3c108BFloat16ELb1EEEvPKlPT_S6_PKS5_illliii.num_named_barrier, 0
	.set _ZN4vllm23rotary_embedding_kernelIN3c108BFloat16ELb1EEEvPKlPT_S6_PKS5_illliii.private_seg_size, 0
	.set _ZN4vllm23rotary_embedding_kernelIN3c108BFloat16ELb1EEEvPKlPT_S6_PKS5_illliii.uses_vcc, 1
	.set _ZN4vllm23rotary_embedding_kernelIN3c108BFloat16ELb1EEEvPKlPT_S6_PKS5_illliii.uses_flat_scratch, 0
	.set _ZN4vllm23rotary_embedding_kernelIN3c108BFloat16ELb1EEEvPKlPT_S6_PKS5_illliii.has_dyn_sized_stack, 0
	.set _ZN4vllm23rotary_embedding_kernelIN3c108BFloat16ELb1EEEvPKlPT_S6_PKS5_illliii.has_recursion, 0
	.set _ZN4vllm23rotary_embedding_kernelIN3c108BFloat16ELb1EEEvPKlPT_S6_PKS5_illliii.has_indirect_call, 0
	.section	.AMDGPU.csdata,"",@progbits
; Kernel info:
; codeLenInByte = 1644
; TotalNumSgprs: 30
; NumVgprs: 17
; ScratchSize: 0
; MemoryBound: 0
; FloatMode: 240
; IeeeMode: 1
; LDSByteSize: 0 bytes/workgroup (compile time only)
; SGPRBlocks: 0
; VGPRBlocks: 2
; NumSGPRsForWavesPerEU: 30
; NumVGPRsForWavesPerEU: 17
; Occupancy: 16
; WaveLimiterHint : 1
; COMPUTE_PGM_RSRC2:SCRATCH_EN: 0
; COMPUTE_PGM_RSRC2:USER_SGPR: 6
; COMPUTE_PGM_RSRC2:TRAP_HANDLER: 0
; COMPUTE_PGM_RSRC2:TGID_X_EN: 1
; COMPUTE_PGM_RSRC2:TGID_Y_EN: 0
; COMPUTE_PGM_RSRC2:TGID_Z_EN: 0
; COMPUTE_PGM_RSRC2:TIDIG_COMP_CNT: 0
	.section	.text._ZN4vllm23rotary_embedding_kernelIN3c108BFloat16ELb0EEEvPKlPT_S6_PKS5_illliii,"axG",@progbits,_ZN4vllm23rotary_embedding_kernelIN3c108BFloat16ELb0EEEvPKlPT_S6_PKS5_illliii,comdat
	.protected	_ZN4vllm23rotary_embedding_kernelIN3c108BFloat16ELb0EEEvPKlPT_S6_PKS5_illliii ; -- Begin function _ZN4vllm23rotary_embedding_kernelIN3c108BFloat16ELb0EEEvPKlPT_S6_PKS5_illliii
	.globl	_ZN4vllm23rotary_embedding_kernelIN3c108BFloat16ELb0EEEvPKlPT_S6_PKS5_illliii
	.p2align	8
	.type	_ZN4vllm23rotary_embedding_kernelIN3c108BFloat16ELb0EEEvPKlPT_S6_PKS5_illliii,@function
_ZN4vllm23rotary_embedding_kernelIN3c108BFloat16ELb0EEEvPKlPT_S6_PKS5_illliii: ; @_ZN4vllm23rotary_embedding_kernelIN3c108BFloat16ELb0EEEvPKlPT_S6_PKS5_illliii
; %bb.0:
	s_clause 0x1
	s_load_dword s21, s[4:5], 0x20
	s_load_dwordx2 s[0:1], s[4:5], 0x0
	s_ashr_i32 s7, s6, 31
	s_load_dwordx4 s[16:19], s[4:5], 0x10
	s_lshl_b64 s[2:3], s[6:7], 3
	s_mov_b32 s23, exec_lo
	s_waitcnt lgkmcnt(0)
	s_ashr_i32 s20, s21, 31
	s_add_u32 s0, s0, s2
	s_addc_u32 s1, s1, s3
	s_load_dwordx2 s[0:1], s[0:1], 0x0
	s_load_dwordx8 s[8:15], s[4:5], 0x28
	s_waitcnt lgkmcnt(0)
	s_mul_i32 s2, s0, s20
	s_mul_hi_u32 s3, s0, s21
	s_mul_i32 s1, s1, s21
	s_add_i32 s2, s3, s2
	s_mul_i32 s0, s0, s21
	s_add_i32 s1, s2, s1
	s_lshl_b64 s[0:1], s[0:1], 1
	s_add_u32 s3, s18, s0
	s_addc_u32 s20, s19, s1
	s_lshr_b32 s0, s21, 31
	s_add_i32 s21, s21, s0
	s_ashr_i32 s18, s21, 1
	s_ashr_i32 s19, s18, 31
	s_mul_i32 s22, s14, s18
	s_lshl_b64 s[0:1], s[18:19], 1
	s_add_u32 s14, s3, s0
	s_addc_u32 s21, s20, s1
	v_cmpx_gt_i32_e64 s22, v0
	s_cbranch_execz .LBB5_3
; %bb.1:
	s_load_dwordx2 s[0:1], s[4:5], 0x8
	s_mul_i32 s2, s8, s7
	s_mul_hi_u32 s24, s8, s6
	s_mul_i32 s9, s9, s6
	s_add_i32 s2, s24, s2
	s_mul_i32 s8, s8, s6
	s_add_i32 s9, s2, s9
	s_load_dword s2, s[4:5], 0x5c
	s_lshl_b64 s[8:9], s[8:9], 1
	v_mov_b32_e32 v3, 1
	v_mov_b32_e32 v4, 0x7fc0
	s_mov_b32 s25, 0
	s_waitcnt lgkmcnt(0)
	s_add_u32 s8, s0, s8
	s_addc_u32 s9, s1, s9
	s_abs_i32 s24, s18
	s_sub_i32 s29, 0, s18
	v_cvt_f32_u32_e32 v1, s24
	s_sub_i32 s0, 0, s24
	s_and_b32 s26, s2, 0xffff
	v_rcp_iflag_f32_e32 v1, v1
	s_lshl_b32 s28, s26, 1
	v_mul_f32_e32 v1, 0x4f7ffffe, v1
	v_cvt_u32_f32_e32 v2, v1
	v_mul_lo_u32 v1, s0, v2
	s_lshl_b32 s0, s18, 1
	s_sub_i32 s27, 0, s0
	v_mul_hi_u32 v5, v2, v1
	v_lshlrev_b32_e32 v1, 1, v0
	v_add_nc_u32_e32 v5, v2, v5
	v_mov_b32_e32 v2, v0
.LBB5_2:                                ; =>This Inner Loop Header: Depth=1
	v_sub_nc_u32_e32 v6, 0, v2
	v_ashrrev_i32_e32 v7, 31, v2
	v_max_i32_e32 v6, v2, v6
	v_xor_b32_e32 v7, s19, v7
	v_mul_hi_u32 v8, v6, v5
	v_mul_lo_u32 v9, v8, s24
	v_add_nc_u32_e32 v10, 1, v8
	v_sub_nc_u32_e32 v6, v6, v9
	v_subrev_nc_u32_e32 v9, s24, v6
	v_cmp_le_u32_e32 vcc_lo, s24, v6
	v_cndmask_b32_e32 v8, v8, v10, vcc_lo
	v_cndmask_b32_e32 v6, v6, v9, vcc_lo
	v_add_nc_u32_e32 v9, 1, v8
	v_cmp_le_u32_e32 vcc_lo, s24, v6
	v_cndmask_b32_e32 v6, v8, v9, vcc_lo
	v_xor_b32_e32 v6, v6, v7
	v_sub_nc_u32_e32 v10, v6, v7
	v_ashrrev_i32_e32 v12, 31, v10
	v_mad_u64_u32 v[6:7], null, s29, v10, v[2:3]
	v_mul_lo_u32 v13, s13, v10
	v_mad_u64_u32 v[8:9], null, s12, v10, 0
	v_mul_lo_u32 v12, s12, v12
	v_mad_u64_u32 v[10:11], null, s27, v10, v[1:2]
	v_ashrrev_i32_e32 v7, 31, v6
	v_add_nc_u32_e32 v2, s26, v2
	v_add_nc_u32_e32 v1, s28, v1
	v_add3_u32 v9, v9, v12, v13
	v_lshlrev_b64 v[6:7], 1, v[6:7]
	v_ashrrev_i32_e32 v11, 31, v10
	v_lshlrev_b64 v[8:9], 1, v[8:9]
	v_add_co_u32 v12, vcc_lo, s3, v6
	v_add_co_ci_u32_e64 v13, null, s20, v7, vcc_lo
	v_add_co_u32 v6, vcc_lo, s14, v6
	v_lshlrev_b64 v[10:11], 1, v[10:11]
	v_add_co_ci_u32_e64 v7, null, s21, v7, vcc_lo
	v_add_co_u32 v8, vcc_lo, s8, v8
	v_add_co_ci_u32_e64 v9, null, s9, v9, vcc_lo
	s_clause 0x1
	global_load_ushort v14, v[6:7], off
	global_load_ushort v12, v[12:13], off
	v_add_co_u32 v6, vcc_lo, v8, v10
	v_add_co_ci_u32_e64 v7, null, v9, v11, vcc_lo
	global_load_dword v8, v[6:7], off
	s_waitcnt vmcnt(2)
	v_lshlrev_b32_e32 v10, 16, v14
	s_waitcnt vmcnt(1)
	v_lshlrev_b32_e32 v9, 16, v12
	s_waitcnt vmcnt(0)
	v_and_b32_e32 v11, 0xffff0000, v8
	v_lshlrev_b32_e32 v8, 16, v8
	v_mul_f32_e32 v12, v11, v9
	v_mul_f32_e32 v11, v11, v10
	;; [unrolled: 1-line block ×4, first 2 shown]
	v_and_b32_sdwa v9, v12, v3 dst_sel:DWORD dst_unused:UNUSED_PAD src0_sel:WORD_1 src1_sel:DWORD
	v_and_b32_sdwa v13, v11, v3 dst_sel:DWORD dst_unused:UNUSED_PAD src0_sel:WORD_1 src1_sel:DWORD
	;; [unrolled: 1-line block ×4, first 2 shown]
	v_cmp_o_f32_e64 s1, v8, v8
	v_add3_u32 v9, v12, v9, 0x7fff
	v_add3_u32 v13, v11, v13, 0x7fff
	;; [unrolled: 1-line block ×4, first 2 shown]
	v_cmp_o_f32_e64 s2, v11, v11
	v_and_b32_e32 v9, 0xffff0000, v9
	v_and_b32_e32 v13, 0xffff0000, v13
	;; [unrolled: 1-line block ×4, first 2 shown]
	v_cmp_o_f32_e32 vcc_lo, v12, v12
	v_cmp_o_f32_e64 s0, v10, v10
	v_cndmask_b32_e64 v8, 0x7fc00000, v13, s2
	v_cndmask_b32_e64 v10, 0x7fc00000, v15, s1
	v_cndmask_b32_e32 v9, 0x7fc00000, v9, vcc_lo
	v_cndmask_b32_e64 v11, 0x7fc00000, v14, s0
	v_sub_f32_e32 v8, v10, v8
	v_add_f32_e32 v9, v11, v9
	v_and_b32_sdwa v10, v8, v3 dst_sel:DWORD dst_unused:UNUSED_PAD src0_sel:WORD_1 src1_sel:DWORD
	v_cmp_o_f32_e32 vcc_lo, v8, v8
	v_and_b32_sdwa v11, v9, v3 dst_sel:DWORD dst_unused:UNUSED_PAD src0_sel:WORD_1 src1_sel:DWORD
	v_cmp_o_f32_e64 s0, v9, v9
	v_add3_u32 v8, v8, v10, 0x7fff
	v_add3_u32 v9, v9, v11, 0x7fff
	v_cndmask_b32_sdwa v8, v4, v8, vcc_lo dst_sel:DWORD dst_unused:UNUSED_PAD src0_sel:DWORD src1_sel:WORD_1
	s_mov_b32 vcc_lo, s0
	v_cndmask_b32_sdwa v9, v4, v9, vcc_lo dst_sel:DWORD dst_unused:UNUSED_PAD src0_sel:DWORD src1_sel:WORD_1
	v_cmp_le_i32_e32 vcc_lo, s22, v2
	v_perm_b32 v8, v9, v8, 0x5040100
	s_or_b32 s25, vcc_lo, s25
	global_store_dword v[6:7], v8, off
	s_andn2_b32 exec_lo, exec_lo, s25
	s_cbranch_execnz .LBB5_2
.LBB5_3:
	s_or_b32 exec_lo, exec_lo, s23
	s_cmp_lg_u64 s[16:17], 0
	s_cbranch_scc0 .LBB5_7
; %bb.4:
	s_mul_i32 s8, s15, s18
	s_mov_b32 s0, exec_lo
	v_cmpx_gt_i32_e64 s8, v0
	s_cbranch_execz .LBB5_7
; %bb.5:
	s_mul_i32 s0, s10, s7
	s_mul_hi_u32 s1, s10, s6
	s_mul_i32 s2, s11, s6
	s_add_i32 s1, s1, s0
	s_mul_i32 s0, s10, s6
	s_add_i32 s1, s1, s2
	v_mov_b32_e32 v2, 1
	s_lshl_b64 s[0:1], s[0:1], 1
	s_add_u32 s6, s16, s0
	s_addc_u32 s7, s17, s1
	s_abs_i32 s9, s18
	s_load_dword s0, s[4:5], 0x5c
	v_cvt_f32_u32_e32 v1, s9
	s_sub_i32 s1, 0, s9
	s_mov_b32 s4, 0
	s_sub_i32 s15, 0, s18
	v_rcp_iflag_f32_e32 v1, v1
	v_mul_f32_e32 v1, 0x4f7ffffe, v1
	s_waitcnt lgkmcnt(0)
	s_and_b32 s5, s0, 0xffff
	v_cvt_u32_f32_e32 v3, v1
	s_lshl_b32 s11, s5, 1
	v_mul_lo_u32 v1, s1, v3
	s_lshl_b32 s1, s18, 1
	s_sub_i32 s10, 0, s1
	v_mul_hi_u32 v4, v3, v1
	v_lshlrev_b32_e32 v1, 1, v0
	v_add_nc_u32_e32 v3, v3, v4
	v_mov_b32_e32 v4, 0x7fc0
.LBB5_6:                                ; =>This Inner Loop Header: Depth=1
	v_sub_nc_u32_e32 v5, 0, v0
	v_ashrrev_i32_e32 v6, 31, v0
	v_max_i32_e32 v5, v0, v5
	v_xor_b32_e32 v6, s19, v6
	v_mul_hi_u32 v7, v5, v3
	v_mul_lo_u32 v8, v7, s9
	v_add_nc_u32_e32 v9, 1, v7
	v_sub_nc_u32_e32 v5, v5, v8
	v_subrev_nc_u32_e32 v8, s9, v5
	v_cmp_le_u32_e32 vcc_lo, s9, v5
	v_cndmask_b32_e32 v7, v7, v9, vcc_lo
	v_cndmask_b32_e32 v5, v5, v8, vcc_lo
	v_add_nc_u32_e32 v8, 1, v7
	v_cmp_le_u32_e32 vcc_lo, s9, v5
	v_cndmask_b32_e32 v5, v7, v8, vcc_lo
	v_xor_b32_e32 v5, v5, v6
	v_sub_nc_u32_e32 v9, v5, v6
	v_ashrrev_i32_e32 v11, 31, v9
	v_mad_u64_u32 v[5:6], null, s15, v9, v[0:1]
	v_mul_lo_u32 v12, s13, v9
	v_mad_u64_u32 v[7:8], null, s12, v9, 0
	v_mul_lo_u32 v11, s12, v11
	v_mad_u64_u32 v[9:10], null, s10, v9, v[1:2]
	v_ashrrev_i32_e32 v6, 31, v5
	v_add_nc_u32_e32 v0, s5, v0
	v_add_nc_u32_e32 v1, s11, v1
	v_add3_u32 v8, v8, v11, v12
	v_lshlrev_b64 v[5:6], 1, v[5:6]
	v_ashrrev_i32_e32 v10, 31, v9
	v_lshlrev_b64 v[7:8], 1, v[7:8]
	v_add_co_u32 v11, vcc_lo, s3, v5
	v_add_co_ci_u32_e64 v12, null, s20, v6, vcc_lo
	v_add_co_u32 v5, vcc_lo, s14, v5
	v_lshlrev_b64 v[9:10], 1, v[9:10]
	v_add_co_ci_u32_e64 v6, null, s21, v6, vcc_lo
	v_add_co_u32 v7, vcc_lo, s6, v7
	v_add_co_ci_u32_e64 v8, null, s7, v8, vcc_lo
	s_clause 0x1
	global_load_ushort v13, v[5:6], off
	global_load_ushort v11, v[11:12], off
	v_add_co_u32 v5, vcc_lo, v7, v9
	v_add_co_ci_u32_e64 v6, null, v8, v10, vcc_lo
	global_load_dword v7, v[5:6], off
	s_waitcnt vmcnt(2)
	v_lshlrev_b32_e32 v9, 16, v13
	s_waitcnt vmcnt(1)
	v_lshlrev_b32_e32 v8, 16, v11
	s_waitcnt vmcnt(0)
	v_and_b32_e32 v10, 0xffff0000, v7
	v_lshlrev_b32_e32 v7, 16, v7
	v_mul_f32_e32 v11, v10, v8
	v_mul_f32_e32 v10, v10, v9
	v_mul_f32_e32 v9, v9, v7
	v_mul_f32_e32 v7, v7, v8
	v_and_b32_sdwa v8, v11, v2 dst_sel:DWORD dst_unused:UNUSED_PAD src0_sel:WORD_1 src1_sel:DWORD
	v_and_b32_sdwa v12, v10, v2 dst_sel:DWORD dst_unused:UNUSED_PAD src0_sel:WORD_1 src1_sel:DWORD
	;; [unrolled: 1-line block ×4, first 2 shown]
	v_cmp_o_f32_e64 s1, v7, v7
	v_add3_u32 v8, v11, v8, 0x7fff
	v_add3_u32 v12, v10, v12, 0x7fff
	;; [unrolled: 1-line block ×4, first 2 shown]
	v_cmp_o_f32_e64 s2, v10, v10
	v_and_b32_e32 v8, 0xffff0000, v8
	v_and_b32_e32 v12, 0xffff0000, v12
	;; [unrolled: 1-line block ×4, first 2 shown]
	v_cmp_o_f32_e32 vcc_lo, v11, v11
	v_cmp_o_f32_e64 s0, v9, v9
	v_cndmask_b32_e64 v7, 0x7fc00000, v12, s2
	v_cndmask_b32_e64 v9, 0x7fc00000, v14, s1
	v_cndmask_b32_e32 v8, 0x7fc00000, v8, vcc_lo
	v_cndmask_b32_e64 v10, 0x7fc00000, v13, s0
	v_sub_f32_e32 v7, v9, v7
	v_add_f32_e32 v8, v10, v8
	v_and_b32_sdwa v9, v7, v2 dst_sel:DWORD dst_unused:UNUSED_PAD src0_sel:WORD_1 src1_sel:DWORD
	v_cmp_o_f32_e32 vcc_lo, v7, v7
	v_and_b32_sdwa v10, v8, v2 dst_sel:DWORD dst_unused:UNUSED_PAD src0_sel:WORD_1 src1_sel:DWORD
	v_cmp_o_f32_e64 s0, v8, v8
	v_add3_u32 v7, v7, v9, 0x7fff
	v_add3_u32 v8, v8, v10, 0x7fff
	v_cndmask_b32_sdwa v7, v4, v7, vcc_lo dst_sel:DWORD dst_unused:UNUSED_PAD src0_sel:DWORD src1_sel:WORD_1
	s_mov_b32 vcc_lo, s0
	v_cndmask_b32_sdwa v8, v4, v8, vcc_lo dst_sel:DWORD dst_unused:UNUSED_PAD src0_sel:DWORD src1_sel:WORD_1
	v_cmp_le_i32_e32 vcc_lo, s8, v0
	v_perm_b32 v7, v8, v7, 0x5040100
	s_or_b32 s4, vcc_lo, s4
	global_store_dword v[5:6], v7, off
	s_andn2_b32 exec_lo, exec_lo, s4
	s_cbranch_execnz .LBB5_6
.LBB5_7:
	s_endpgm
	.section	.rodata,"a",@progbits
	.p2align	6, 0x0
	.amdhsa_kernel _ZN4vllm23rotary_embedding_kernelIN3c108BFloat16ELb0EEEvPKlPT_S6_PKS5_illliii
		.amdhsa_group_segment_fixed_size 0
		.amdhsa_private_segment_fixed_size 0
		.amdhsa_kernarg_size 336
		.amdhsa_user_sgpr_count 6
		.amdhsa_user_sgpr_private_segment_buffer 1
		.amdhsa_user_sgpr_dispatch_ptr 0
		.amdhsa_user_sgpr_queue_ptr 0
		.amdhsa_user_sgpr_kernarg_segment_ptr 1
		.amdhsa_user_sgpr_dispatch_id 0
		.amdhsa_user_sgpr_flat_scratch_init 0
		.amdhsa_user_sgpr_private_segment_size 0
		.amdhsa_wavefront_size32 1
		.amdhsa_uses_dynamic_stack 0
		.amdhsa_system_sgpr_private_segment_wavefront_offset 0
		.amdhsa_system_sgpr_workgroup_id_x 1
		.amdhsa_system_sgpr_workgroup_id_y 0
		.amdhsa_system_sgpr_workgroup_id_z 0
		.amdhsa_system_sgpr_workgroup_info 0
		.amdhsa_system_vgpr_workitem_id 0
		.amdhsa_next_free_vgpr 16
		.amdhsa_next_free_sgpr 30
		.amdhsa_reserve_vcc 1
		.amdhsa_reserve_flat_scratch 0
		.amdhsa_float_round_mode_32 0
		.amdhsa_float_round_mode_16_64 0
		.amdhsa_float_denorm_mode_32 3
		.amdhsa_float_denorm_mode_16_64 3
		.amdhsa_dx10_clamp 1
		.amdhsa_ieee_mode 1
		.amdhsa_fp16_overflow 0
		.amdhsa_workgroup_processor_mode 1
		.amdhsa_memory_ordered 1
		.amdhsa_forward_progress 1
		.amdhsa_shared_vgpr_count 0
		.amdhsa_exception_fp_ieee_invalid_op 0
		.amdhsa_exception_fp_denorm_src 0
		.amdhsa_exception_fp_ieee_div_zero 0
		.amdhsa_exception_fp_ieee_overflow 0
		.amdhsa_exception_fp_ieee_underflow 0
		.amdhsa_exception_fp_ieee_inexact 0
		.amdhsa_exception_int_div_zero 0
	.end_amdhsa_kernel
	.section	.text._ZN4vllm23rotary_embedding_kernelIN3c108BFloat16ELb0EEEvPKlPT_S6_PKS5_illliii,"axG",@progbits,_ZN4vllm23rotary_embedding_kernelIN3c108BFloat16ELb0EEEvPKlPT_S6_PKS5_illliii,comdat
.Lfunc_end5:
	.size	_ZN4vllm23rotary_embedding_kernelIN3c108BFloat16ELb0EEEvPKlPT_S6_PKS5_illliii, .Lfunc_end5-_ZN4vllm23rotary_embedding_kernelIN3c108BFloat16ELb0EEEvPKlPT_S6_PKS5_illliii
                                        ; -- End function
	.set _ZN4vllm23rotary_embedding_kernelIN3c108BFloat16ELb0EEEvPKlPT_S6_PKS5_illliii.num_vgpr, 16
	.set _ZN4vllm23rotary_embedding_kernelIN3c108BFloat16ELb0EEEvPKlPT_S6_PKS5_illliii.num_agpr, 0
	.set _ZN4vllm23rotary_embedding_kernelIN3c108BFloat16ELb0EEEvPKlPT_S6_PKS5_illliii.numbered_sgpr, 30
	.set _ZN4vllm23rotary_embedding_kernelIN3c108BFloat16ELb0EEEvPKlPT_S6_PKS5_illliii.num_named_barrier, 0
	.set _ZN4vllm23rotary_embedding_kernelIN3c108BFloat16ELb0EEEvPKlPT_S6_PKS5_illliii.private_seg_size, 0
	.set _ZN4vllm23rotary_embedding_kernelIN3c108BFloat16ELb0EEEvPKlPT_S6_PKS5_illliii.uses_vcc, 1
	.set _ZN4vllm23rotary_embedding_kernelIN3c108BFloat16ELb0EEEvPKlPT_S6_PKS5_illliii.uses_flat_scratch, 0
	.set _ZN4vllm23rotary_embedding_kernelIN3c108BFloat16ELb0EEEvPKlPT_S6_PKS5_illliii.has_dyn_sized_stack, 0
	.set _ZN4vllm23rotary_embedding_kernelIN3c108BFloat16ELb0EEEvPKlPT_S6_PKS5_illliii.has_recursion, 0
	.set _ZN4vllm23rotary_embedding_kernelIN3c108BFloat16ELb0EEEvPKlPT_S6_PKS5_illliii.has_indirect_call, 0
	.section	.AMDGPU.csdata,"",@progbits
; Kernel info:
; codeLenInByte = 1700
; TotalNumSgprs: 32
; NumVgprs: 16
; ScratchSize: 0
; MemoryBound: 0
; FloatMode: 240
; IeeeMode: 1
; LDSByteSize: 0 bytes/workgroup (compile time only)
; SGPRBlocks: 0
; VGPRBlocks: 1
; NumSGPRsForWavesPerEU: 32
; NumVGPRsForWavesPerEU: 16
; Occupancy: 16
; WaveLimiterHint : 1
; COMPUTE_PGM_RSRC2:SCRATCH_EN: 0
; COMPUTE_PGM_RSRC2:USER_SGPR: 6
; COMPUTE_PGM_RSRC2:TRAP_HANDLER: 0
; COMPUTE_PGM_RSRC2:TGID_X_EN: 1
; COMPUTE_PGM_RSRC2:TGID_Y_EN: 0
; COMPUTE_PGM_RSRC2:TGID_Z_EN: 0
; COMPUTE_PGM_RSRC2:TIDIG_COMP_CNT: 0
	.section	.text._ZN4vllm31batched_rotary_embedding_kernelIfLb1EEEvPKlPT_S4_PKS3_S2_illliii,"axG",@progbits,_ZN4vllm31batched_rotary_embedding_kernelIfLb1EEEvPKlPT_S4_PKS3_S2_illliii,comdat
	.protected	_ZN4vllm31batched_rotary_embedding_kernelIfLb1EEEvPKlPT_S4_PKS3_S2_illliii ; -- Begin function _ZN4vllm31batched_rotary_embedding_kernelIfLb1EEEvPKlPT_S4_PKS3_S2_illliii
	.globl	_ZN4vllm31batched_rotary_embedding_kernelIfLb1EEEvPKlPT_S4_PKS3_S2_illliii
	.p2align	8
	.type	_ZN4vllm31batched_rotary_embedding_kernelIfLb1EEEvPKlPT_S4_PKS3_S2_illliii,@function
_ZN4vllm31batched_rotary_embedding_kernelIfLb1EEEvPKlPT_S4_PKS3_S2_illliii: ; @_ZN4vllm31batched_rotary_embedding_kernelIfLb1EEEvPKlPT_S4_PKS3_S2_illliii
; %bb.0:
	s_clause 0x2
	s_load_dword s20, s[4:5], 0x28
	s_load_dwordx2 s[8:9], s[4:5], 0x0
	s_load_dwordx2 s[10:11], s[4:5], 0x20
	s_ashr_i32 s7, s6, 31
	s_load_dwordx4 s[0:3], s[4:5], 0x10
	s_lshl_b64 s[12:13], s[6:7], 3
	s_waitcnt lgkmcnt(0)
	s_ashr_i32 s21, s20, 31
	s_add_u32 s8, s8, s12
	s_addc_u32 s9, s9, s13
	s_add_u32 s10, s10, s12
	s_addc_u32 s11, s11, s13
	s_load_dwordx2 s[16:17], s[8:9], 0x0
	s_load_dwordx2 s[18:19], s[10:11], 0x0
	s_load_dwordx8 s[8:15], s[4:5], 0x30
	s_waitcnt lgkmcnt(0)
	s_add_u32 s16, s18, s16
	s_addc_u32 s17, s19, s17
	s_mul_i32 s18, s16, s21
	s_mul_hi_u32 s19, s16, s20
	s_mul_i32 s17, s17, s20
	s_add_i32 s18, s19, s18
	s_mul_i32 s16, s16, s20
	s_add_i32 s17, s18, s17
	s_mov_b32 s21, exec_lo
	s_lshl_b64 s[16:17], s[16:17], 2
	s_add_u32 s18, s2, s16
	s_addc_u32 s19, s3, s17
	s_lshr_b32 s2, s20, 31
	s_add_i32 s20, s20, s2
	s_ashr_i32 s16, s20, 1
	s_ashr_i32 s17, s16, 31
	s_mul_i32 s20, s14, s16
	s_lshl_b64 s[2:3], s[16:17], 2
	s_add_u32 s14, s18, s2
	s_addc_u32 s17, s19, s3
	v_cmpx_gt_i32_e64 s20, v0
	s_cbranch_execz .LBB6_3
; %bb.1:
	s_load_dwordx2 s[22:23], s[4:5], 0x8
	s_mul_i32 s24, s8, s7
	s_mul_hi_u32 s25, s8, s6
	s_mul_i32 s9, s9, s6
	s_add_i32 s24, s25, s24
	s_mul_i32 s8, s8, s6
	s_add_i32 s9, s24, s9
	s_load_dword s24, s[4:5], 0x64
	s_lshl_b64 s[8:9], s[8:9], 2
	s_mov_b32 s25, 0
	s_waitcnt lgkmcnt(0)
	s_add_u32 s8, s22, s8
	s_addc_u32 s9, s23, s9
	s_abs_i32 s22, s16
	s_sub_i32 s26, 0, s16
	v_cvt_f32_u32_e32 v1, s22
	s_sub_i32 s23, 0, s22
	v_rcp_iflag_f32_e32 v1, v1
	v_mul_f32_e32 v1, 0x4f7ffffe, v1
	v_cvt_u32_f32_e32 v1, v1
	v_mul_lo_u32 v2, s23, v1
	s_and_b32 s23, s24, 0xffff
	s_ashr_i32 s24, s16, 31
	v_mul_hi_u32 v2, v1, v2
	v_add_nc_u32_e32 v2, v1, v2
	v_mov_b32_e32 v1, v0
.LBB6_2:                                ; =>This Inner Loop Header: Depth=1
	v_sub_nc_u32_e32 v3, 0, v1
	v_ashrrev_i32_e32 v4, 31, v1
	v_max_i32_e32 v3, v1, v3
	v_xor_b32_e32 v4, s24, v4
	v_mul_hi_u32 v5, v3, v2
	v_mul_lo_u32 v6, v5, s22
	v_add_nc_u32_e32 v7, 1, v5
	v_sub_nc_u32_e32 v3, v3, v6
	v_subrev_nc_u32_e32 v6, s22, v3
	v_cmp_le_u32_e32 vcc_lo, s22, v3
	v_cndmask_b32_e32 v5, v5, v7, vcc_lo
	v_cndmask_b32_e32 v3, v3, v6, vcc_lo
	v_add_nc_u32_e32 v6, 1, v5
	v_cmp_le_u32_e32 vcc_lo, s22, v3
	v_cndmask_b32_e32 v3, v5, v6, vcc_lo
	v_xor_b32_e32 v3, v3, v4
	v_sub_nc_u32_e32 v5, v3, v4
	v_ashrrev_i32_e32 v7, 31, v5
	v_mad_u64_u32 v[3:4], null, s26, v5, v[1:2]
	v_mul_lo_u32 v8, s13, v5
	v_mad_u64_u32 v[5:6], null, s12, v5, 0
	v_mul_lo_u32 v7, s12, v7
	v_add_nc_u32_e32 v1, s23, v1
	v_ashrrev_i32_e32 v4, 31, v3
	v_add3_u32 v6, v6, v7, v8
	v_lshlrev_b64 v[3:4], 2, v[3:4]
	v_lshlrev_b64 v[5:6], 2, v[5:6]
	v_add_co_u32 v7, vcc_lo, s18, v3
	v_add_co_ci_u32_e64 v8, null, s19, v4, vcc_lo
	v_add_co_u32 v9, vcc_lo, s14, v3
	v_add_co_ci_u32_e64 v10, null, s17, v4, vcc_lo
	;; [unrolled: 2-line block ×5, first 2 shown]
	s_clause 0x1
	global_load_dword v7, v[7:8], off
	global_load_dword v8, v[9:10], off
	s_clause 0x1
	global_load_dword v9, v[3:4], off
	global_load_dword v10, v[5:6], off
	v_cmp_le_i32_e32 vcc_lo, s20, v1
	s_or_b32 s25, vcc_lo, s25
	s_waitcnt vmcnt(0)
	v_mul_f32_e32 v11, v8, v10
	v_mul_f32_e32 v10, v7, v10
	v_fma_f32 v7, v7, v9, -v11
	v_fmac_f32_e32 v10, v8, v9
	global_store_dword v[3:4], v7, off
	global_store_dword v[5:6], v10, off
	s_andn2_b32 exec_lo, exec_lo, s25
	s_cbranch_execnz .LBB6_2
.LBB6_3:
	s_or_b32 exec_lo, exec_lo, s21
	s_cmp_lg_u64 s[0:1], 0
	s_cbranch_scc0 .LBB6_7
; %bb.4:
	s_mul_i32 s8, s15, s16
	s_mov_b32 s9, exec_lo
	v_cmpx_gt_i32_e64 s8, v0
	s_cbranch_execz .LBB6_7
; %bb.5:
	s_mul_i32 s7, s10, s7
	s_mul_hi_u32 s9, s10, s6
	s_load_dword s4, s[4:5], 0x64
	s_add_i32 s7, s9, s7
	s_mul_i32 s9, s11, s6
	s_mul_i32 s6, s10, s6
	s_add_i32 s7, s7, s9
	s_lshl_b64 s[6:7], s[6:7], 2
	s_add_u32 s0, s0, s6
	s_addc_u32 s1, s1, s7
	s_abs_i32 s6, s16
	s_mov_b32 s7, 0
	v_cvt_f32_u32_e32 v1, s6
	s_sub_i32 s5, 0, s6
	s_sub_i32 s9, 0, s16
	v_rcp_iflag_f32_e32 v1, v1
	s_waitcnt lgkmcnt(0)
	s_and_b32 s4, s4, 0xffff
	v_mul_f32_e32 v1, 0x4f7ffffe, v1
	v_cvt_u32_f32_e32 v1, v1
	v_mul_lo_u32 v2, s5, v1
	s_ashr_i32 s5, s16, 31
	v_mul_hi_u32 v2, v1, v2
	v_add_nc_u32_e32 v1, v1, v2
.LBB6_6:                                ; =>This Inner Loop Header: Depth=1
	v_sub_nc_u32_e32 v2, 0, v0
	v_ashrrev_i32_e32 v3, 31, v0
	v_max_i32_e32 v2, v0, v2
	v_xor_b32_e32 v3, s5, v3
	v_mul_hi_u32 v4, v2, v1
	v_mul_lo_u32 v5, v4, s6
	v_add_nc_u32_e32 v6, 1, v4
	v_sub_nc_u32_e32 v2, v2, v5
	v_subrev_nc_u32_e32 v5, s6, v2
	v_cmp_le_u32_e32 vcc_lo, s6, v2
	v_cndmask_b32_e32 v4, v4, v6, vcc_lo
	v_cndmask_b32_e32 v2, v2, v5, vcc_lo
	v_add_nc_u32_e32 v5, 1, v4
	v_cmp_le_u32_e32 vcc_lo, s6, v2
	v_cndmask_b32_e32 v2, v4, v5, vcc_lo
	v_xor_b32_e32 v2, v2, v3
	v_sub_nc_u32_e32 v4, v2, v3
	v_ashrrev_i32_e32 v6, 31, v4
	v_mad_u64_u32 v[2:3], null, s9, v4, v[0:1]
	v_mul_lo_u32 v7, s13, v4
	v_mad_u64_u32 v[4:5], null, s12, v4, 0
	v_mul_lo_u32 v6, s12, v6
	v_add_nc_u32_e32 v0, s4, v0
	v_ashrrev_i32_e32 v3, 31, v2
	v_add3_u32 v5, v5, v6, v7
	v_lshlrev_b64 v[2:3], 2, v[2:3]
	v_lshlrev_b64 v[4:5], 2, v[4:5]
	v_add_co_u32 v6, vcc_lo, s18, v2
	v_add_co_ci_u32_e64 v7, null, s19, v3, vcc_lo
	v_add_co_u32 v8, vcc_lo, s14, v2
	v_add_co_ci_u32_e64 v9, null, s17, v3, vcc_lo
	;; [unrolled: 2-line block ×5, first 2 shown]
	s_clause 0x1
	global_load_dword v6, v[6:7], off
	global_load_dword v7, v[8:9], off
	s_clause 0x1
	global_load_dword v8, v[2:3], off
	global_load_dword v9, v[4:5], off
	v_cmp_le_i32_e32 vcc_lo, s8, v0
	s_or_b32 s7, vcc_lo, s7
	s_waitcnt vmcnt(0)
	v_mul_f32_e32 v10, v7, v9
	v_mul_f32_e32 v9, v6, v9
	v_fma_f32 v6, v6, v8, -v10
	v_fmac_f32_e32 v9, v7, v8
	global_store_dword v[2:3], v6, off
	global_store_dword v[4:5], v9, off
	s_andn2_b32 exec_lo, exec_lo, s7
	s_cbranch_execnz .LBB6_6
.LBB6_7:
	s_endpgm
	.section	.rodata,"a",@progbits
	.p2align	6, 0x0
	.amdhsa_kernel _ZN4vllm31batched_rotary_embedding_kernelIfLb1EEEvPKlPT_S4_PKS3_S2_illliii
		.amdhsa_group_segment_fixed_size 0
		.amdhsa_private_segment_fixed_size 0
		.amdhsa_kernarg_size 344
		.amdhsa_user_sgpr_count 6
		.amdhsa_user_sgpr_private_segment_buffer 1
		.amdhsa_user_sgpr_dispatch_ptr 0
		.amdhsa_user_sgpr_queue_ptr 0
		.amdhsa_user_sgpr_kernarg_segment_ptr 1
		.amdhsa_user_sgpr_dispatch_id 0
		.amdhsa_user_sgpr_flat_scratch_init 0
		.amdhsa_user_sgpr_private_segment_size 0
		.amdhsa_wavefront_size32 1
		.amdhsa_uses_dynamic_stack 0
		.amdhsa_system_sgpr_private_segment_wavefront_offset 0
		.amdhsa_system_sgpr_workgroup_id_x 1
		.amdhsa_system_sgpr_workgroup_id_y 0
		.amdhsa_system_sgpr_workgroup_id_z 0
		.amdhsa_system_sgpr_workgroup_info 0
		.amdhsa_system_vgpr_workitem_id 0
		.amdhsa_next_free_vgpr 12
		.amdhsa_next_free_sgpr 27
		.amdhsa_reserve_vcc 1
		.amdhsa_reserve_flat_scratch 0
		.amdhsa_float_round_mode_32 0
		.amdhsa_float_round_mode_16_64 0
		.amdhsa_float_denorm_mode_32 3
		.amdhsa_float_denorm_mode_16_64 3
		.amdhsa_dx10_clamp 1
		.amdhsa_ieee_mode 1
		.amdhsa_fp16_overflow 0
		.amdhsa_workgroup_processor_mode 1
		.amdhsa_memory_ordered 1
		.amdhsa_forward_progress 1
		.amdhsa_shared_vgpr_count 0
		.amdhsa_exception_fp_ieee_invalid_op 0
		.amdhsa_exception_fp_denorm_src 0
		.amdhsa_exception_fp_ieee_div_zero 0
		.amdhsa_exception_fp_ieee_overflow 0
		.amdhsa_exception_fp_ieee_underflow 0
		.amdhsa_exception_fp_ieee_inexact 0
		.amdhsa_exception_int_div_zero 0
	.end_amdhsa_kernel
	.section	.text._ZN4vllm31batched_rotary_embedding_kernelIfLb1EEEvPKlPT_S4_PKS3_S2_illliii,"axG",@progbits,_ZN4vllm31batched_rotary_embedding_kernelIfLb1EEEvPKlPT_S4_PKS3_S2_illliii,comdat
.Lfunc_end6:
	.size	_ZN4vllm31batched_rotary_embedding_kernelIfLb1EEEvPKlPT_S4_PKS3_S2_illliii, .Lfunc_end6-_ZN4vllm31batched_rotary_embedding_kernelIfLb1EEEvPKlPT_S4_PKS3_S2_illliii
                                        ; -- End function
	.set _ZN4vllm31batched_rotary_embedding_kernelIfLb1EEEvPKlPT_S4_PKS3_S2_illliii.num_vgpr, 12
	.set _ZN4vllm31batched_rotary_embedding_kernelIfLb1EEEvPKlPT_S4_PKS3_S2_illliii.num_agpr, 0
	.set _ZN4vllm31batched_rotary_embedding_kernelIfLb1EEEvPKlPT_S4_PKS3_S2_illliii.numbered_sgpr, 27
	.set _ZN4vllm31batched_rotary_embedding_kernelIfLb1EEEvPKlPT_S4_PKS3_S2_illliii.num_named_barrier, 0
	.set _ZN4vllm31batched_rotary_embedding_kernelIfLb1EEEvPKlPT_S4_PKS3_S2_illliii.private_seg_size, 0
	.set _ZN4vllm31batched_rotary_embedding_kernelIfLb1EEEvPKlPT_S4_PKS3_S2_illliii.uses_vcc, 1
	.set _ZN4vllm31batched_rotary_embedding_kernelIfLb1EEEvPKlPT_S4_PKS3_S2_illliii.uses_flat_scratch, 0
	.set _ZN4vllm31batched_rotary_embedding_kernelIfLb1EEEvPKlPT_S4_PKS3_S2_illliii.has_dyn_sized_stack, 0
	.set _ZN4vllm31batched_rotary_embedding_kernelIfLb1EEEvPKlPT_S4_PKS3_S2_illliii.has_recursion, 0
	.set _ZN4vllm31batched_rotary_embedding_kernelIfLb1EEEvPKlPT_S4_PKS3_S2_illliii.has_indirect_call, 0
	.section	.AMDGPU.csdata,"",@progbits
; Kernel info:
; codeLenInByte = 1108
; TotalNumSgprs: 29
; NumVgprs: 12
; ScratchSize: 0
; MemoryBound: 0
; FloatMode: 240
; IeeeMode: 1
; LDSByteSize: 0 bytes/workgroup (compile time only)
; SGPRBlocks: 0
; VGPRBlocks: 1
; NumSGPRsForWavesPerEU: 29
; NumVGPRsForWavesPerEU: 12
; Occupancy: 16
; WaveLimiterHint : 1
; COMPUTE_PGM_RSRC2:SCRATCH_EN: 0
; COMPUTE_PGM_RSRC2:USER_SGPR: 6
; COMPUTE_PGM_RSRC2:TRAP_HANDLER: 0
; COMPUTE_PGM_RSRC2:TGID_X_EN: 1
; COMPUTE_PGM_RSRC2:TGID_Y_EN: 0
; COMPUTE_PGM_RSRC2:TGID_Z_EN: 0
; COMPUTE_PGM_RSRC2:TIDIG_COMP_CNT: 0
	.section	.text._ZN4vllm31batched_rotary_embedding_kernelIfLb0EEEvPKlPT_S4_PKS3_S2_illliii,"axG",@progbits,_ZN4vllm31batched_rotary_embedding_kernelIfLb0EEEvPKlPT_S4_PKS3_S2_illliii,comdat
	.protected	_ZN4vllm31batched_rotary_embedding_kernelIfLb0EEEvPKlPT_S4_PKS3_S2_illliii ; -- Begin function _ZN4vllm31batched_rotary_embedding_kernelIfLb0EEEvPKlPT_S4_PKS3_S2_illliii
	.globl	_ZN4vllm31batched_rotary_embedding_kernelIfLb0EEEvPKlPT_S4_PKS3_S2_illliii
	.p2align	8
	.type	_ZN4vllm31batched_rotary_embedding_kernelIfLb0EEEvPKlPT_S4_PKS3_S2_illliii,@function
_ZN4vllm31batched_rotary_embedding_kernelIfLb0EEEvPKlPT_S4_PKS3_S2_illliii: ; @_ZN4vllm31batched_rotary_embedding_kernelIfLb0EEEvPKlPT_S4_PKS3_S2_illliii
; %bb.0:
	s_clause 0x2
	s_load_dword s20, s[4:5], 0x28
	s_load_dwordx2 s[8:9], s[4:5], 0x0
	s_load_dwordx2 s[10:11], s[4:5], 0x20
	s_ashr_i32 s7, s6, 31
	s_load_dwordx4 s[0:3], s[4:5], 0x10
	s_lshl_b64 s[12:13], s[6:7], 3
	s_waitcnt lgkmcnt(0)
	s_ashr_i32 s21, s20, 31
	s_add_u32 s8, s8, s12
	s_addc_u32 s9, s9, s13
	s_add_u32 s10, s10, s12
	s_addc_u32 s11, s11, s13
	s_load_dwordx2 s[16:17], s[8:9], 0x0
	s_load_dwordx2 s[18:19], s[10:11], 0x0
	s_load_dwordx8 s[8:15], s[4:5], 0x30
	s_waitcnt lgkmcnt(0)
	s_add_u32 s16, s18, s16
	s_addc_u32 s17, s19, s17
	s_mul_i32 s18, s16, s21
	s_mul_hi_u32 s19, s16, s20
	s_mul_i32 s17, s17, s20
	s_add_i32 s18, s19, s18
	s_mul_i32 s16, s16, s20
	s_add_i32 s17, s18, s17
	s_lshl_b64 s[16:17], s[16:17], 2
	s_add_u32 s16, s2, s16
	s_addc_u32 s17, s3, s17
	s_lshr_b32 s2, s20, 31
	s_add_i32 s20, s20, s2
	s_ashr_i32 s2, s20, 1
	s_ashr_i32 s3, s2, 31
	s_mul_i32 s19, s14, s2
	s_lshl_b64 s[20:21], s[2:3], 2
	s_add_u32 s14, s16, s20
	s_addc_u32 s18, s17, s21
	s_mov_b32 s20, exec_lo
	v_cmpx_gt_i32_e64 s19, v0
	s_cbranch_execz .LBB7_3
; %bb.1:
	s_load_dwordx2 s[22:23], s[4:5], 0x8
	s_mul_i32 s21, s8, s7
	s_mul_hi_u32 s24, s8, s6
	s_mul_i32 s9, s9, s6
	s_add_i32 s21, s24, s21
	s_mul_i32 s8, s8, s6
	s_add_i32 s9, s21, s9
	s_load_dword s24, s[4:5], 0x64
	s_lshl_b64 s[8:9], s[8:9], 2
	s_waitcnt lgkmcnt(0)
	s_add_u32 s8, s22, s8
	s_addc_u32 s9, s23, s9
	s_abs_i32 s21, s2
	s_sub_i32 s26, 0, s2
	v_cvt_f32_u32_e32 v1, s21
	s_sub_i32 s22, 0, s21
	s_and_b32 s23, s24, 0xffff
	s_lshl_b32 s24, s2, 1
	v_rcp_iflag_f32_e32 v1, v1
	s_sub_i32 s24, 0, s24
	s_lshl_b32 s25, s23, 1
	v_mul_f32_e32 v1, 0x4f7ffffe, v1
	v_cvt_u32_f32_e32 v2, v1
	v_mul_lo_u32 v1, s22, v2
	s_mov_b32 s22, 0
	v_mul_hi_u32 v3, v2, v1
	v_lshlrev_b32_e32 v1, 1, v0
	v_add_nc_u32_e32 v3, v2, v3
	v_mov_b32_e32 v2, v0
.LBB7_2:                                ; =>This Inner Loop Header: Depth=1
	v_sub_nc_u32_e32 v4, 0, v2
	v_ashrrev_i32_e32 v5, 31, v2
	v_max_i32_e32 v4, v2, v4
	v_xor_b32_e32 v5, s3, v5
	v_mul_hi_u32 v6, v4, v3
	v_mul_lo_u32 v7, v6, s21
	v_add_nc_u32_e32 v8, 1, v6
	v_sub_nc_u32_e32 v4, v4, v7
	v_subrev_nc_u32_e32 v7, s21, v4
	v_cmp_le_u32_e32 vcc_lo, s21, v4
	v_cndmask_b32_e32 v6, v6, v8, vcc_lo
	v_cndmask_b32_e32 v4, v4, v7, vcc_lo
	v_add_nc_u32_e32 v7, 1, v6
	v_cmp_le_u32_e32 vcc_lo, s21, v4
	v_cndmask_b32_e32 v4, v6, v7, vcc_lo
	v_xor_b32_e32 v4, v4, v5
	v_sub_nc_u32_e32 v8, v4, v5
	v_ashrrev_i32_e32 v10, 31, v8
	v_mad_u64_u32 v[4:5], null, s26, v8, v[2:3]
	v_mul_lo_u32 v11, s13, v8
	v_mad_u64_u32 v[6:7], null, s12, v8, 0
	v_mul_lo_u32 v10, s12, v10
	v_mad_u64_u32 v[8:9], null, s24, v8, v[1:2]
	v_ashrrev_i32_e32 v5, 31, v4
	v_add_nc_u32_e32 v2, s23, v2
	v_add_nc_u32_e32 v1, s25, v1
	v_add3_u32 v7, v7, v10, v11
	v_lshlrev_b64 v[4:5], 2, v[4:5]
	v_ashrrev_i32_e32 v9, 31, v8
	v_lshlrev_b64 v[6:7], 2, v[6:7]
	v_add_co_u32 v10, vcc_lo, s16, v4
	v_add_co_ci_u32_e64 v11, null, s17, v5, vcc_lo
	v_add_co_u32 v4, vcc_lo, s14, v4
	v_lshlrev_b64 v[8:9], 2, v[8:9]
	v_add_co_ci_u32_e64 v5, null, s18, v5, vcc_lo
	v_add_co_u32 v6, vcc_lo, s8, v6
	v_add_co_ci_u32_e64 v7, null, s9, v7, vcc_lo
	v_add_co_u32 v6, vcc_lo, v6, v8
	v_add_co_ci_u32_e64 v7, null, v7, v9, vcc_lo
	s_clause 0x1
	global_load_dword v8, v[10:11], off
	global_load_dword v10, v[4:5], off
	global_load_dwordx2 v[4:5], v[6:7], off
	v_cmp_le_i32_e32 vcc_lo, s19, v2
	s_or_b32 s22, vcc_lo, s22
	s_waitcnt vmcnt(0)
	v_mul_f32_e32 v11, v10, v5
	v_mul_f32_e32 v9, v8, v5
	v_fma_f32 v8, v8, v4, -v11
	v_fmac_f32_e32 v9, v10, v4
	global_store_dwordx2 v[6:7], v[8:9], off
	s_andn2_b32 exec_lo, exec_lo, s22
	s_cbranch_execnz .LBB7_2
.LBB7_3:
	s_or_b32 exec_lo, exec_lo, s20
	s_cmp_lg_u64 s[0:1], 0
	s_cbranch_scc0 .LBB7_7
; %bb.4:
	s_mul_i32 s8, s15, s2
	s_mov_b32 s9, exec_lo
	v_cmpx_gt_i32_e64 s8, v0
	s_cbranch_execz .LBB7_7
; %bb.5:
	s_mul_i32 s7, s10, s7
	s_mul_hi_u32 s9, s10, s6
	s_load_dword s5, s[4:5], 0x64
	s_add_i32 s7, s9, s7
	s_mul_i32 s9, s11, s6
	s_mul_i32 s6, s10, s6
	s_add_i32 s7, s7, s9
	s_lshl_b64 s[6:7], s[6:7], 2
	s_add_u32 s0, s0, s6
	s_addc_u32 s1, s1, s7
	s_abs_i32 s6, s2
	s_lshl_b32 s7, s2, 1
	v_cvt_f32_u32_e32 v1, s6
	s_sub_i32 s4, 0, s6
	s_sub_i32 s7, 0, s7
	;; [unrolled: 1-line block ×3, first 2 shown]
	v_rcp_iflag_f32_e32 v1, v1
	s_waitcnt lgkmcnt(0)
	s_and_b32 s5, s5, 0xffff
	s_lshl_b32 s9, s5, 1
	v_mul_f32_e32 v1, 0x4f7ffffe, v1
	v_cvt_u32_f32_e32 v1, v1
	v_mul_lo_u32 v2, s4, v1
	s_mov_b32 s4, 0
	v_mul_hi_u32 v2, v1, v2
	v_add_nc_u32_e32 v2, v1, v2
	v_lshlrev_b32_e32 v1, 1, v0
.LBB7_6:                                ; =>This Inner Loop Header: Depth=1
	v_sub_nc_u32_e32 v3, 0, v0
	v_ashrrev_i32_e32 v4, 31, v0
	v_max_i32_e32 v3, v0, v3
	v_xor_b32_e32 v4, s3, v4
	v_mul_hi_u32 v5, v3, v2
	v_mul_lo_u32 v6, v5, s6
	v_add_nc_u32_e32 v7, 1, v5
	v_sub_nc_u32_e32 v3, v3, v6
	v_subrev_nc_u32_e32 v6, s6, v3
	v_cmp_le_u32_e32 vcc_lo, s6, v3
	v_cndmask_b32_e32 v5, v5, v7, vcc_lo
	v_cndmask_b32_e32 v3, v3, v6, vcc_lo
	v_add_nc_u32_e32 v6, 1, v5
	v_cmp_le_u32_e32 vcc_lo, s6, v3
	v_cndmask_b32_e32 v3, v5, v6, vcc_lo
	v_xor_b32_e32 v3, v3, v4
	v_sub_nc_u32_e32 v7, v3, v4
	v_ashrrev_i32_e32 v9, 31, v7
	v_mad_u64_u32 v[3:4], null, s2, v7, v[0:1]
	v_mul_lo_u32 v10, s13, v7
	v_mad_u64_u32 v[5:6], null, s12, v7, 0
	v_mul_lo_u32 v9, s12, v9
	v_mad_u64_u32 v[7:8], null, s7, v7, v[1:2]
	v_ashrrev_i32_e32 v4, 31, v3
	v_add_nc_u32_e32 v0, s5, v0
	v_add_nc_u32_e32 v1, s9, v1
	v_add3_u32 v6, v6, v9, v10
	v_lshlrev_b64 v[3:4], 2, v[3:4]
	v_ashrrev_i32_e32 v8, 31, v7
	v_lshlrev_b64 v[5:6], 2, v[5:6]
	v_add_co_u32 v9, vcc_lo, s16, v3
	v_add_co_ci_u32_e64 v10, null, s17, v4, vcc_lo
	v_add_co_u32 v3, vcc_lo, s14, v3
	v_lshlrev_b64 v[7:8], 2, v[7:8]
	v_add_co_ci_u32_e64 v4, null, s18, v4, vcc_lo
	v_add_co_u32 v5, vcc_lo, s0, v5
	v_add_co_ci_u32_e64 v6, null, s1, v6, vcc_lo
	v_add_co_u32 v5, vcc_lo, v5, v7
	v_add_co_ci_u32_e64 v6, null, v6, v8, vcc_lo
	s_clause 0x1
	global_load_dword v7, v[9:10], off
	global_load_dword v9, v[3:4], off
	global_load_dwordx2 v[3:4], v[5:6], off
	v_cmp_le_i32_e32 vcc_lo, s8, v0
	s_or_b32 s4, vcc_lo, s4
	s_waitcnt vmcnt(0)
	v_mul_f32_e32 v10, v9, v4
	v_mul_f32_e32 v8, v7, v4
	v_fma_f32 v7, v7, v3, -v10
	v_fmac_f32_e32 v8, v9, v3
	global_store_dwordx2 v[5:6], v[7:8], off
	s_andn2_b32 exec_lo, exec_lo, s4
	s_cbranch_execnz .LBB7_6
.LBB7_7:
	s_endpgm
	.section	.rodata,"a",@progbits
	.p2align	6, 0x0
	.amdhsa_kernel _ZN4vllm31batched_rotary_embedding_kernelIfLb0EEEvPKlPT_S4_PKS3_S2_illliii
		.amdhsa_group_segment_fixed_size 0
		.amdhsa_private_segment_fixed_size 0
		.amdhsa_kernarg_size 344
		.amdhsa_user_sgpr_count 6
		.amdhsa_user_sgpr_private_segment_buffer 1
		.amdhsa_user_sgpr_dispatch_ptr 0
		.amdhsa_user_sgpr_queue_ptr 0
		.amdhsa_user_sgpr_kernarg_segment_ptr 1
		.amdhsa_user_sgpr_dispatch_id 0
		.amdhsa_user_sgpr_flat_scratch_init 0
		.amdhsa_user_sgpr_private_segment_size 0
		.amdhsa_wavefront_size32 1
		.amdhsa_uses_dynamic_stack 0
		.amdhsa_system_sgpr_private_segment_wavefront_offset 0
		.amdhsa_system_sgpr_workgroup_id_x 1
		.amdhsa_system_sgpr_workgroup_id_y 0
		.amdhsa_system_sgpr_workgroup_id_z 0
		.amdhsa_system_sgpr_workgroup_info 0
		.amdhsa_system_vgpr_workitem_id 0
		.amdhsa_next_free_vgpr 12
		.amdhsa_next_free_sgpr 27
		.amdhsa_reserve_vcc 1
		.amdhsa_reserve_flat_scratch 0
		.amdhsa_float_round_mode_32 0
		.amdhsa_float_round_mode_16_64 0
		.amdhsa_float_denorm_mode_32 3
		.amdhsa_float_denorm_mode_16_64 3
		.amdhsa_dx10_clamp 1
		.amdhsa_ieee_mode 1
		.amdhsa_fp16_overflow 0
		.amdhsa_workgroup_processor_mode 1
		.amdhsa_memory_ordered 1
		.amdhsa_forward_progress 1
		.amdhsa_shared_vgpr_count 0
		.amdhsa_exception_fp_ieee_invalid_op 0
		.amdhsa_exception_fp_denorm_src 0
		.amdhsa_exception_fp_ieee_div_zero 0
		.amdhsa_exception_fp_ieee_overflow 0
		.amdhsa_exception_fp_ieee_underflow 0
		.amdhsa_exception_fp_ieee_inexact 0
		.amdhsa_exception_int_div_zero 0
	.end_amdhsa_kernel
	.section	.text._ZN4vllm31batched_rotary_embedding_kernelIfLb0EEEvPKlPT_S4_PKS3_S2_illliii,"axG",@progbits,_ZN4vllm31batched_rotary_embedding_kernelIfLb0EEEvPKlPT_S4_PKS3_S2_illliii,comdat
.Lfunc_end7:
	.size	_ZN4vllm31batched_rotary_embedding_kernelIfLb0EEEvPKlPT_S4_PKS3_S2_illliii, .Lfunc_end7-_ZN4vllm31batched_rotary_embedding_kernelIfLb0EEEvPKlPT_S4_PKS3_S2_illliii
                                        ; -- End function
	.set _ZN4vllm31batched_rotary_embedding_kernelIfLb0EEEvPKlPT_S4_PKS3_S2_illliii.num_vgpr, 12
	.set _ZN4vllm31batched_rotary_embedding_kernelIfLb0EEEvPKlPT_S4_PKS3_S2_illliii.num_agpr, 0
	.set _ZN4vllm31batched_rotary_embedding_kernelIfLb0EEEvPKlPT_S4_PKS3_S2_illliii.numbered_sgpr, 27
	.set _ZN4vllm31batched_rotary_embedding_kernelIfLb0EEEvPKlPT_S4_PKS3_S2_illliii.num_named_barrier, 0
	.set _ZN4vllm31batched_rotary_embedding_kernelIfLb0EEEvPKlPT_S4_PKS3_S2_illliii.private_seg_size, 0
	.set _ZN4vllm31batched_rotary_embedding_kernelIfLb0EEEvPKlPT_S4_PKS3_S2_illliii.uses_vcc, 1
	.set _ZN4vllm31batched_rotary_embedding_kernelIfLb0EEEvPKlPT_S4_PKS3_S2_illliii.uses_flat_scratch, 0
	.set _ZN4vllm31batched_rotary_embedding_kernelIfLb0EEEvPKlPT_S4_PKS3_S2_illliii.has_dyn_sized_stack, 0
	.set _ZN4vllm31batched_rotary_embedding_kernelIfLb0EEEvPKlPT_S4_PKS3_S2_illliii.has_recursion, 0
	.set _ZN4vllm31batched_rotary_embedding_kernelIfLb0EEEvPKlPT_S4_PKS3_S2_illliii.has_indirect_call, 0
	.section	.AMDGPU.csdata,"",@progbits
; Kernel info:
; codeLenInByte = 1108
; TotalNumSgprs: 29
; NumVgprs: 12
; ScratchSize: 0
; MemoryBound: 0
; FloatMode: 240
; IeeeMode: 1
; LDSByteSize: 0 bytes/workgroup (compile time only)
; SGPRBlocks: 0
; VGPRBlocks: 1
; NumSGPRsForWavesPerEU: 29
; NumVGPRsForWavesPerEU: 12
; Occupancy: 16
; WaveLimiterHint : 1
; COMPUTE_PGM_RSRC2:SCRATCH_EN: 0
; COMPUTE_PGM_RSRC2:USER_SGPR: 6
; COMPUTE_PGM_RSRC2:TRAP_HANDLER: 0
; COMPUTE_PGM_RSRC2:TGID_X_EN: 1
; COMPUTE_PGM_RSRC2:TGID_Y_EN: 0
; COMPUTE_PGM_RSRC2:TGID_Z_EN: 0
; COMPUTE_PGM_RSRC2:TIDIG_COMP_CNT: 0
	.section	.text._ZN4vllm31batched_rotary_embedding_kernelIN3c104HalfELb1EEEvPKlPT_S6_PKS5_S4_illliii,"axG",@progbits,_ZN4vllm31batched_rotary_embedding_kernelIN3c104HalfELb1EEEvPKlPT_S6_PKS5_S4_illliii,comdat
	.protected	_ZN4vllm31batched_rotary_embedding_kernelIN3c104HalfELb1EEEvPKlPT_S6_PKS5_S4_illliii ; -- Begin function _ZN4vllm31batched_rotary_embedding_kernelIN3c104HalfELb1EEEvPKlPT_S6_PKS5_S4_illliii
	.globl	_ZN4vllm31batched_rotary_embedding_kernelIN3c104HalfELb1EEEvPKlPT_S6_PKS5_S4_illliii
	.p2align	8
	.type	_ZN4vllm31batched_rotary_embedding_kernelIN3c104HalfELb1EEEvPKlPT_S6_PKS5_S4_illliii,@function
_ZN4vllm31batched_rotary_embedding_kernelIN3c104HalfELb1EEEvPKlPT_S6_PKS5_S4_illliii: ; @_ZN4vllm31batched_rotary_embedding_kernelIN3c104HalfELb1EEEvPKlPT_S6_PKS5_S4_illliii
; %bb.0:
	s_clause 0x2
	s_load_dword s20, s[4:5], 0x28
	s_load_dwordx2 s[8:9], s[4:5], 0x0
	s_load_dwordx2 s[10:11], s[4:5], 0x20
	s_ashr_i32 s7, s6, 31
	s_load_dwordx4 s[0:3], s[4:5], 0x10
	s_lshl_b64 s[12:13], s[6:7], 3
	s_waitcnt lgkmcnt(0)
	s_ashr_i32 s21, s20, 31
	s_add_u32 s8, s8, s12
	s_addc_u32 s9, s9, s13
	s_add_u32 s10, s10, s12
	s_addc_u32 s11, s11, s13
	s_load_dwordx2 s[16:17], s[8:9], 0x0
	s_load_dwordx2 s[18:19], s[10:11], 0x0
	s_load_dwordx8 s[8:15], s[4:5], 0x30
	s_waitcnt lgkmcnt(0)
	s_add_u32 s16, s18, s16
	s_addc_u32 s17, s19, s17
	s_mul_i32 s18, s16, s21
	s_mul_hi_u32 s19, s16, s20
	s_mul_i32 s17, s17, s20
	s_add_i32 s18, s19, s18
	s_mul_i32 s16, s16, s20
	s_add_i32 s17, s18, s17
	s_mov_b32 s21, exec_lo
	s_lshl_b64 s[16:17], s[16:17], 1
	s_add_u32 s18, s2, s16
	s_addc_u32 s19, s3, s17
	s_lshr_b32 s2, s20, 31
	s_add_i32 s20, s20, s2
	s_ashr_i32 s16, s20, 1
	s_ashr_i32 s17, s16, 31
	s_mul_i32 s20, s14, s16
	s_lshl_b64 s[2:3], s[16:17], 1
	s_add_u32 s14, s18, s2
	s_addc_u32 s17, s19, s3
	v_cmpx_gt_i32_e64 s20, v0
	s_cbranch_execz .LBB8_3
; %bb.1:
	s_load_dwordx2 s[22:23], s[4:5], 0x8
	s_mul_i32 s24, s8, s7
	s_mul_hi_u32 s25, s8, s6
	s_mul_i32 s9, s9, s6
	s_add_i32 s24, s25, s24
	s_mul_i32 s8, s8, s6
	s_add_i32 s9, s24, s9
	s_load_dword s24, s[4:5], 0x64
	s_lshl_b64 s[8:9], s[8:9], 1
	s_mov_b32 s25, 0
	s_waitcnt lgkmcnt(0)
	s_add_u32 s8, s22, s8
	s_addc_u32 s9, s23, s9
	s_abs_i32 s22, s16
	s_sub_i32 s26, 0, s16
	v_cvt_f32_u32_e32 v1, s22
	s_sub_i32 s23, 0, s22
	v_rcp_iflag_f32_e32 v1, v1
	v_mul_f32_e32 v1, 0x4f7ffffe, v1
	v_cvt_u32_f32_e32 v1, v1
	v_mul_lo_u32 v2, s23, v1
	s_and_b32 s23, s24, 0xffff
	s_ashr_i32 s24, s16, 31
	v_mul_hi_u32 v2, v1, v2
	v_add_nc_u32_e32 v2, v1, v2
	v_mov_b32_e32 v1, v0
.LBB8_2:                                ; =>This Inner Loop Header: Depth=1
	v_sub_nc_u32_e32 v3, 0, v1
	v_ashrrev_i32_e32 v4, 31, v1
	v_max_i32_e32 v3, v1, v3
	v_xor_b32_e32 v4, s24, v4
	v_mul_hi_u32 v5, v3, v2
	v_mul_lo_u32 v6, v5, s22
	v_add_nc_u32_e32 v7, 1, v5
	v_sub_nc_u32_e32 v3, v3, v6
	v_subrev_nc_u32_e32 v6, s22, v3
	v_cmp_le_u32_e32 vcc_lo, s22, v3
	v_cndmask_b32_e32 v5, v5, v7, vcc_lo
	v_cndmask_b32_e32 v3, v3, v6, vcc_lo
	v_add_nc_u32_e32 v6, 1, v5
	v_cmp_le_u32_e32 vcc_lo, s22, v3
	v_cndmask_b32_e32 v3, v5, v6, vcc_lo
	v_xor_b32_e32 v3, v3, v4
	v_sub_nc_u32_e32 v5, v3, v4
	v_ashrrev_i32_e32 v7, 31, v5
	v_mad_u64_u32 v[3:4], null, s26, v5, v[1:2]
	v_mul_lo_u32 v8, s13, v5
	v_mad_u64_u32 v[5:6], null, s12, v5, 0
	v_mul_lo_u32 v7, s12, v7
	v_add_nc_u32_e32 v1, s23, v1
	v_ashrrev_i32_e32 v4, 31, v3
	v_add3_u32 v6, v6, v7, v8
	v_lshlrev_b64 v[3:4], 1, v[3:4]
	v_lshlrev_b64 v[5:6], 1, v[5:6]
	v_add_co_u32 v7, vcc_lo, s18, v3
	v_add_co_ci_u32_e64 v8, null, s19, v4, vcc_lo
	v_add_co_u32 v9, vcc_lo, s14, v3
	v_add_co_ci_u32_e64 v10, null, s17, v4, vcc_lo
	;; [unrolled: 2-line block ×5, first 2 shown]
	s_clause 0x1
	global_load_ushort v7, v[7:8], off
	global_load_ushort v8, v[9:10], off
	s_clause 0x1
	global_load_ushort v9, v[3:4], off
	global_load_ushort v10, v[5:6], off
	v_cmp_le_i32_e32 vcc_lo, s20, v1
	s_or_b32 s25, vcc_lo, s25
	s_waitcnt vmcnt(0)
	v_mul_f16_e32 v11, v8, v10
	v_mul_f16_e32 v10, v7, v10
	v_fma_f16 v7, v7, v9, -v11
	v_fmac_f16_e32 v10, v8, v9
	global_store_short v[3:4], v7, off
	global_store_short v[5:6], v10, off
	s_andn2_b32 exec_lo, exec_lo, s25
	s_cbranch_execnz .LBB8_2
.LBB8_3:
	s_or_b32 exec_lo, exec_lo, s21
	s_cmp_lg_u64 s[0:1], 0
	s_cbranch_scc0 .LBB8_7
; %bb.4:
	s_mul_i32 s8, s15, s16
	s_mov_b32 s9, exec_lo
	v_cmpx_gt_i32_e64 s8, v0
	s_cbranch_execz .LBB8_7
; %bb.5:
	s_mul_i32 s7, s10, s7
	s_mul_hi_u32 s9, s10, s6
	s_load_dword s4, s[4:5], 0x64
	s_add_i32 s7, s9, s7
	s_mul_i32 s9, s11, s6
	s_mul_i32 s6, s10, s6
	s_add_i32 s7, s7, s9
	s_lshl_b64 s[6:7], s[6:7], 1
	s_add_u32 s0, s0, s6
	s_addc_u32 s1, s1, s7
	s_abs_i32 s6, s16
	s_mov_b32 s7, 0
	v_cvt_f32_u32_e32 v1, s6
	s_sub_i32 s5, 0, s6
	s_sub_i32 s9, 0, s16
	v_rcp_iflag_f32_e32 v1, v1
	s_waitcnt lgkmcnt(0)
	s_and_b32 s4, s4, 0xffff
	v_mul_f32_e32 v1, 0x4f7ffffe, v1
	v_cvt_u32_f32_e32 v1, v1
	v_mul_lo_u32 v2, s5, v1
	s_ashr_i32 s5, s16, 31
	v_mul_hi_u32 v2, v1, v2
	v_add_nc_u32_e32 v1, v1, v2
.LBB8_6:                                ; =>This Inner Loop Header: Depth=1
	v_sub_nc_u32_e32 v2, 0, v0
	v_ashrrev_i32_e32 v3, 31, v0
	v_max_i32_e32 v2, v0, v2
	v_xor_b32_e32 v3, s5, v3
	v_mul_hi_u32 v4, v2, v1
	v_mul_lo_u32 v5, v4, s6
	v_add_nc_u32_e32 v6, 1, v4
	v_sub_nc_u32_e32 v2, v2, v5
	v_subrev_nc_u32_e32 v5, s6, v2
	v_cmp_le_u32_e32 vcc_lo, s6, v2
	v_cndmask_b32_e32 v4, v4, v6, vcc_lo
	v_cndmask_b32_e32 v2, v2, v5, vcc_lo
	v_add_nc_u32_e32 v5, 1, v4
	v_cmp_le_u32_e32 vcc_lo, s6, v2
	v_cndmask_b32_e32 v2, v4, v5, vcc_lo
	v_xor_b32_e32 v2, v2, v3
	v_sub_nc_u32_e32 v4, v2, v3
	v_ashrrev_i32_e32 v6, 31, v4
	v_mad_u64_u32 v[2:3], null, s9, v4, v[0:1]
	v_mul_lo_u32 v7, s13, v4
	v_mad_u64_u32 v[4:5], null, s12, v4, 0
	v_mul_lo_u32 v6, s12, v6
	v_add_nc_u32_e32 v0, s4, v0
	v_ashrrev_i32_e32 v3, 31, v2
	v_add3_u32 v5, v5, v6, v7
	v_lshlrev_b64 v[2:3], 1, v[2:3]
	v_lshlrev_b64 v[4:5], 1, v[4:5]
	v_add_co_u32 v6, vcc_lo, s18, v2
	v_add_co_ci_u32_e64 v7, null, s19, v3, vcc_lo
	v_add_co_u32 v8, vcc_lo, s14, v2
	v_add_co_ci_u32_e64 v9, null, s17, v3, vcc_lo
	v_add_co_u32 v4, vcc_lo, s0, v4
	v_add_co_ci_u32_e64 v5, null, s1, v5, vcc_lo
	v_add_co_u32 v2, vcc_lo, v4, v2
	v_add_co_ci_u32_e64 v3, null, v5, v3, vcc_lo
	v_add_co_u32 v4, vcc_lo, v2, s2
	v_add_co_ci_u32_e64 v5, null, s3, v3, vcc_lo
	s_clause 0x1
	global_load_ushort v6, v[6:7], off
	global_load_ushort v7, v[8:9], off
	s_clause 0x1
	global_load_ushort v8, v[2:3], off
	global_load_ushort v9, v[4:5], off
	v_cmp_le_i32_e32 vcc_lo, s8, v0
	s_or_b32 s7, vcc_lo, s7
	s_waitcnt vmcnt(0)
	v_mul_f16_e32 v10, v7, v9
	v_mul_f16_e32 v9, v6, v9
	v_fma_f16 v6, v6, v8, -v10
	v_fmac_f16_e32 v9, v7, v8
	global_store_short v[2:3], v6, off
	global_store_short v[4:5], v9, off
	s_andn2_b32 exec_lo, exec_lo, s7
	s_cbranch_execnz .LBB8_6
.LBB8_7:
	s_endpgm
	.section	.rodata,"a",@progbits
	.p2align	6, 0x0
	.amdhsa_kernel _ZN4vllm31batched_rotary_embedding_kernelIN3c104HalfELb1EEEvPKlPT_S6_PKS5_S4_illliii
		.amdhsa_group_segment_fixed_size 0
		.amdhsa_private_segment_fixed_size 0
		.amdhsa_kernarg_size 344
		.amdhsa_user_sgpr_count 6
		.amdhsa_user_sgpr_private_segment_buffer 1
		.amdhsa_user_sgpr_dispatch_ptr 0
		.amdhsa_user_sgpr_queue_ptr 0
		.amdhsa_user_sgpr_kernarg_segment_ptr 1
		.amdhsa_user_sgpr_dispatch_id 0
		.amdhsa_user_sgpr_flat_scratch_init 0
		.amdhsa_user_sgpr_private_segment_size 0
		.amdhsa_wavefront_size32 1
		.amdhsa_uses_dynamic_stack 0
		.amdhsa_system_sgpr_private_segment_wavefront_offset 0
		.amdhsa_system_sgpr_workgroup_id_x 1
		.amdhsa_system_sgpr_workgroup_id_y 0
		.amdhsa_system_sgpr_workgroup_id_z 0
		.amdhsa_system_sgpr_workgroup_info 0
		.amdhsa_system_vgpr_workitem_id 0
		.amdhsa_next_free_vgpr 12
		.amdhsa_next_free_sgpr 27
		.amdhsa_reserve_vcc 1
		.amdhsa_reserve_flat_scratch 0
		.amdhsa_float_round_mode_32 0
		.amdhsa_float_round_mode_16_64 0
		.amdhsa_float_denorm_mode_32 3
		.amdhsa_float_denorm_mode_16_64 3
		.amdhsa_dx10_clamp 1
		.amdhsa_ieee_mode 1
		.amdhsa_fp16_overflow 0
		.amdhsa_workgroup_processor_mode 1
		.amdhsa_memory_ordered 1
		.amdhsa_forward_progress 1
		.amdhsa_shared_vgpr_count 0
		.amdhsa_exception_fp_ieee_invalid_op 0
		.amdhsa_exception_fp_denorm_src 0
		.amdhsa_exception_fp_ieee_div_zero 0
		.amdhsa_exception_fp_ieee_overflow 0
		.amdhsa_exception_fp_ieee_underflow 0
		.amdhsa_exception_fp_ieee_inexact 0
		.amdhsa_exception_int_div_zero 0
	.end_amdhsa_kernel
	.section	.text._ZN4vllm31batched_rotary_embedding_kernelIN3c104HalfELb1EEEvPKlPT_S6_PKS5_S4_illliii,"axG",@progbits,_ZN4vllm31batched_rotary_embedding_kernelIN3c104HalfELb1EEEvPKlPT_S6_PKS5_S4_illliii,comdat
.Lfunc_end8:
	.size	_ZN4vllm31batched_rotary_embedding_kernelIN3c104HalfELb1EEEvPKlPT_S6_PKS5_S4_illliii, .Lfunc_end8-_ZN4vllm31batched_rotary_embedding_kernelIN3c104HalfELb1EEEvPKlPT_S6_PKS5_S4_illliii
                                        ; -- End function
	.set _ZN4vllm31batched_rotary_embedding_kernelIN3c104HalfELb1EEEvPKlPT_S6_PKS5_S4_illliii.num_vgpr, 12
	.set _ZN4vllm31batched_rotary_embedding_kernelIN3c104HalfELb1EEEvPKlPT_S6_PKS5_S4_illliii.num_agpr, 0
	.set _ZN4vllm31batched_rotary_embedding_kernelIN3c104HalfELb1EEEvPKlPT_S6_PKS5_S4_illliii.numbered_sgpr, 27
	.set _ZN4vllm31batched_rotary_embedding_kernelIN3c104HalfELb1EEEvPKlPT_S6_PKS5_S4_illliii.num_named_barrier, 0
	.set _ZN4vllm31batched_rotary_embedding_kernelIN3c104HalfELb1EEEvPKlPT_S6_PKS5_S4_illliii.private_seg_size, 0
	.set _ZN4vllm31batched_rotary_embedding_kernelIN3c104HalfELb1EEEvPKlPT_S6_PKS5_S4_illliii.uses_vcc, 1
	.set _ZN4vllm31batched_rotary_embedding_kernelIN3c104HalfELb1EEEvPKlPT_S6_PKS5_S4_illliii.uses_flat_scratch, 0
	.set _ZN4vllm31batched_rotary_embedding_kernelIN3c104HalfELb1EEEvPKlPT_S6_PKS5_S4_illliii.has_dyn_sized_stack, 0
	.set _ZN4vllm31batched_rotary_embedding_kernelIN3c104HalfELb1EEEvPKlPT_S6_PKS5_S4_illliii.has_recursion, 0
	.set _ZN4vllm31batched_rotary_embedding_kernelIN3c104HalfELb1EEEvPKlPT_S6_PKS5_S4_illliii.has_indirect_call, 0
	.section	.AMDGPU.csdata,"",@progbits
; Kernel info:
; codeLenInByte = 1108
; TotalNumSgprs: 29
; NumVgprs: 12
; ScratchSize: 0
; MemoryBound: 0
; FloatMode: 240
; IeeeMode: 1
; LDSByteSize: 0 bytes/workgroup (compile time only)
; SGPRBlocks: 0
; VGPRBlocks: 1
; NumSGPRsForWavesPerEU: 29
; NumVGPRsForWavesPerEU: 12
; Occupancy: 16
; WaveLimiterHint : 1
; COMPUTE_PGM_RSRC2:SCRATCH_EN: 0
; COMPUTE_PGM_RSRC2:USER_SGPR: 6
; COMPUTE_PGM_RSRC2:TRAP_HANDLER: 0
; COMPUTE_PGM_RSRC2:TGID_X_EN: 1
; COMPUTE_PGM_RSRC2:TGID_Y_EN: 0
; COMPUTE_PGM_RSRC2:TGID_Z_EN: 0
; COMPUTE_PGM_RSRC2:TIDIG_COMP_CNT: 0
	.section	.text._ZN4vllm31batched_rotary_embedding_kernelIN3c104HalfELb0EEEvPKlPT_S6_PKS5_S4_illliii,"axG",@progbits,_ZN4vllm31batched_rotary_embedding_kernelIN3c104HalfELb0EEEvPKlPT_S6_PKS5_S4_illliii,comdat
	.protected	_ZN4vllm31batched_rotary_embedding_kernelIN3c104HalfELb0EEEvPKlPT_S6_PKS5_S4_illliii ; -- Begin function _ZN4vllm31batched_rotary_embedding_kernelIN3c104HalfELb0EEEvPKlPT_S6_PKS5_S4_illliii
	.globl	_ZN4vllm31batched_rotary_embedding_kernelIN3c104HalfELb0EEEvPKlPT_S6_PKS5_S4_illliii
	.p2align	8
	.type	_ZN4vllm31batched_rotary_embedding_kernelIN3c104HalfELb0EEEvPKlPT_S6_PKS5_S4_illliii,@function
_ZN4vllm31batched_rotary_embedding_kernelIN3c104HalfELb0EEEvPKlPT_S6_PKS5_S4_illliii: ; @_ZN4vllm31batched_rotary_embedding_kernelIN3c104HalfELb0EEEvPKlPT_S6_PKS5_S4_illliii
; %bb.0:
	s_clause 0x2
	s_load_dword s20, s[4:5], 0x28
	s_load_dwordx2 s[8:9], s[4:5], 0x0
	s_load_dwordx2 s[10:11], s[4:5], 0x20
	s_ashr_i32 s7, s6, 31
	s_load_dwordx4 s[0:3], s[4:5], 0x10
	s_lshl_b64 s[12:13], s[6:7], 3
	s_waitcnt lgkmcnt(0)
	s_ashr_i32 s21, s20, 31
	s_add_u32 s8, s8, s12
	s_addc_u32 s9, s9, s13
	s_add_u32 s10, s10, s12
	s_addc_u32 s11, s11, s13
	s_load_dwordx2 s[16:17], s[8:9], 0x0
	s_load_dwordx2 s[18:19], s[10:11], 0x0
	s_load_dwordx8 s[8:15], s[4:5], 0x30
	s_waitcnt lgkmcnt(0)
	s_add_u32 s16, s18, s16
	s_addc_u32 s17, s19, s17
	s_mul_i32 s18, s16, s21
	s_mul_hi_u32 s19, s16, s20
	s_mul_i32 s17, s17, s20
	s_add_i32 s18, s19, s18
	s_mul_i32 s16, s16, s20
	s_add_i32 s17, s18, s17
	s_lshl_b64 s[16:17], s[16:17], 1
	s_add_u32 s16, s2, s16
	s_addc_u32 s17, s3, s17
	s_lshr_b32 s2, s20, 31
	s_add_i32 s20, s20, s2
	s_ashr_i32 s2, s20, 1
	s_ashr_i32 s3, s2, 31
	s_mul_i32 s19, s14, s2
	s_lshl_b64 s[20:21], s[2:3], 1
	s_add_u32 s14, s16, s20
	s_addc_u32 s18, s17, s21
	s_mov_b32 s20, exec_lo
	v_cmpx_gt_i32_e64 s19, v0
	s_cbranch_execz .LBB9_3
; %bb.1:
	s_load_dwordx2 s[22:23], s[4:5], 0x8
	s_mul_i32 s21, s8, s7
	s_mul_hi_u32 s24, s8, s6
	s_mul_i32 s9, s9, s6
	s_add_i32 s21, s24, s21
	s_mul_i32 s8, s8, s6
	s_add_i32 s9, s21, s9
	s_load_dword s24, s[4:5], 0x64
	s_lshl_b64 s[8:9], s[8:9], 1
	s_waitcnt lgkmcnt(0)
	s_add_u32 s8, s22, s8
	s_addc_u32 s9, s23, s9
	s_abs_i32 s21, s2
	s_sub_i32 s26, 0, s2
	v_cvt_f32_u32_e32 v1, s21
	s_sub_i32 s22, 0, s21
	s_and_b32 s23, s24, 0xffff
	s_lshl_b32 s24, s2, 1
	v_rcp_iflag_f32_e32 v1, v1
	s_sub_i32 s24, 0, s24
	s_lshl_b32 s25, s23, 1
	v_mul_f32_e32 v1, 0x4f7ffffe, v1
	v_cvt_u32_f32_e32 v2, v1
	v_mul_lo_u32 v1, s22, v2
	s_mov_b32 s22, 0
	v_mul_hi_u32 v3, v2, v1
	v_lshlrev_b32_e32 v1, 1, v0
	v_add_nc_u32_e32 v3, v2, v3
	v_mov_b32_e32 v2, v0
.LBB9_2:                                ; =>This Inner Loop Header: Depth=1
	v_sub_nc_u32_e32 v4, 0, v2
	v_ashrrev_i32_e32 v5, 31, v2
	v_max_i32_e32 v4, v2, v4
	v_xor_b32_e32 v5, s3, v5
	v_mul_hi_u32 v6, v4, v3
	v_mul_lo_u32 v7, v6, s21
	v_add_nc_u32_e32 v8, 1, v6
	v_sub_nc_u32_e32 v4, v4, v7
	v_subrev_nc_u32_e32 v7, s21, v4
	v_cmp_le_u32_e32 vcc_lo, s21, v4
	v_cndmask_b32_e32 v6, v6, v8, vcc_lo
	v_cndmask_b32_e32 v4, v4, v7, vcc_lo
	v_add_nc_u32_e32 v7, 1, v6
	v_cmp_le_u32_e32 vcc_lo, s21, v4
	v_cndmask_b32_e32 v4, v6, v7, vcc_lo
	v_xor_b32_e32 v4, v4, v5
	v_sub_nc_u32_e32 v8, v4, v5
	v_ashrrev_i32_e32 v10, 31, v8
	v_mad_u64_u32 v[4:5], null, s26, v8, v[2:3]
	v_mul_lo_u32 v11, s13, v8
	v_mad_u64_u32 v[6:7], null, s12, v8, 0
	v_mul_lo_u32 v10, s12, v10
	v_mad_u64_u32 v[8:9], null, s24, v8, v[1:2]
	v_ashrrev_i32_e32 v5, 31, v4
	v_add_nc_u32_e32 v2, s23, v2
	v_add_nc_u32_e32 v1, s25, v1
	v_add3_u32 v7, v7, v10, v11
	v_lshlrev_b64 v[4:5], 1, v[4:5]
	v_ashrrev_i32_e32 v9, 31, v8
	v_lshlrev_b64 v[6:7], 1, v[6:7]
	v_add_co_u32 v10, vcc_lo, s16, v4
	v_add_co_ci_u32_e64 v11, null, s17, v5, vcc_lo
	v_add_co_u32 v4, vcc_lo, s14, v4
	v_lshlrev_b64 v[8:9], 1, v[8:9]
	v_add_co_ci_u32_e64 v5, null, s18, v5, vcc_lo
	v_add_co_u32 v6, vcc_lo, s8, v6
	v_add_co_ci_u32_e64 v7, null, s9, v7, vcc_lo
	v_add_co_u32 v6, vcc_lo, v6, v8
	v_add_co_ci_u32_e64 v7, null, v7, v9, vcc_lo
	s_clause 0x1
	global_load_ushort v8, v[10:11], off
	global_load_ushort v4, v[4:5], off
	global_load_dword v5, v[6:7], off
	v_cmp_le_i32_e32 vcc_lo, s19, v2
	s_or_b32 s22, vcc_lo, s22
	s_waitcnt vmcnt(0)
	v_pk_mul_f16 v4, v4, v5 op_sel:[0,1] op_sel_hi:[0,0]
	v_pk_fma_f16 v9, v8, v5, v4 neg_lo:[0,0,1] neg_hi:[0,0,1]
	v_pk_fma_f16 v4, v8, v5, v4 op_sel_hi:[0,1,1]
	v_bfi_b32 v4, 0xffff, v9, v4
	global_store_dword v[6:7], v4, off
	s_andn2_b32 exec_lo, exec_lo, s22
	s_cbranch_execnz .LBB9_2
.LBB9_3:
	s_or_b32 exec_lo, exec_lo, s20
	s_cmp_lg_u64 s[0:1], 0
	s_cbranch_scc0 .LBB9_7
; %bb.4:
	s_mul_i32 s8, s15, s2
	s_mov_b32 s9, exec_lo
	v_cmpx_gt_i32_e64 s8, v0
	s_cbranch_execz .LBB9_7
; %bb.5:
	s_mul_i32 s7, s10, s7
	s_mul_hi_u32 s9, s10, s6
	s_load_dword s5, s[4:5], 0x64
	s_add_i32 s7, s9, s7
	s_mul_i32 s9, s11, s6
	s_mul_i32 s6, s10, s6
	s_add_i32 s7, s7, s9
	s_lshl_b64 s[6:7], s[6:7], 1
	s_add_u32 s0, s0, s6
	s_addc_u32 s1, s1, s7
	s_abs_i32 s6, s2
	s_lshl_b32 s7, s2, 1
	v_cvt_f32_u32_e32 v1, s6
	s_sub_i32 s4, 0, s6
	s_sub_i32 s7, 0, s7
	;; [unrolled: 1-line block ×3, first 2 shown]
	v_rcp_iflag_f32_e32 v1, v1
	s_waitcnt lgkmcnt(0)
	s_and_b32 s5, s5, 0xffff
	s_lshl_b32 s9, s5, 1
	v_mul_f32_e32 v1, 0x4f7ffffe, v1
	v_cvt_u32_f32_e32 v1, v1
	v_mul_lo_u32 v2, s4, v1
	s_mov_b32 s4, 0
	v_mul_hi_u32 v2, v1, v2
	v_add_nc_u32_e32 v2, v1, v2
	v_lshlrev_b32_e32 v1, 1, v0
.LBB9_6:                                ; =>This Inner Loop Header: Depth=1
	v_sub_nc_u32_e32 v3, 0, v0
	v_ashrrev_i32_e32 v4, 31, v0
	v_max_i32_e32 v3, v0, v3
	v_xor_b32_e32 v4, s3, v4
	v_mul_hi_u32 v5, v3, v2
	v_mul_lo_u32 v6, v5, s6
	v_add_nc_u32_e32 v7, 1, v5
	v_sub_nc_u32_e32 v3, v3, v6
	v_subrev_nc_u32_e32 v6, s6, v3
	v_cmp_le_u32_e32 vcc_lo, s6, v3
	v_cndmask_b32_e32 v5, v5, v7, vcc_lo
	v_cndmask_b32_e32 v3, v3, v6, vcc_lo
	v_add_nc_u32_e32 v6, 1, v5
	v_cmp_le_u32_e32 vcc_lo, s6, v3
	v_cndmask_b32_e32 v3, v5, v6, vcc_lo
	v_xor_b32_e32 v3, v3, v4
	v_sub_nc_u32_e32 v7, v3, v4
	v_ashrrev_i32_e32 v9, 31, v7
	v_mad_u64_u32 v[3:4], null, s2, v7, v[0:1]
	v_mul_lo_u32 v10, s13, v7
	v_mad_u64_u32 v[5:6], null, s12, v7, 0
	v_mul_lo_u32 v9, s12, v9
	v_mad_u64_u32 v[7:8], null, s7, v7, v[1:2]
	v_ashrrev_i32_e32 v4, 31, v3
	v_add_nc_u32_e32 v0, s5, v0
	v_add_nc_u32_e32 v1, s9, v1
	v_add3_u32 v6, v6, v9, v10
	v_lshlrev_b64 v[3:4], 1, v[3:4]
	v_ashrrev_i32_e32 v8, 31, v7
	v_lshlrev_b64 v[5:6], 1, v[5:6]
	v_add_co_u32 v9, vcc_lo, s16, v3
	v_add_co_ci_u32_e64 v10, null, s17, v4, vcc_lo
	v_add_co_u32 v3, vcc_lo, s14, v3
	v_lshlrev_b64 v[7:8], 1, v[7:8]
	v_add_co_ci_u32_e64 v4, null, s18, v4, vcc_lo
	v_add_co_u32 v5, vcc_lo, s0, v5
	v_add_co_ci_u32_e64 v6, null, s1, v6, vcc_lo
	v_add_co_u32 v5, vcc_lo, v5, v7
	v_add_co_ci_u32_e64 v6, null, v6, v8, vcc_lo
	s_clause 0x1
	global_load_ushort v7, v[9:10], off
	global_load_ushort v3, v[3:4], off
	global_load_dword v4, v[5:6], off
	v_cmp_le_i32_e32 vcc_lo, s8, v0
	s_or_b32 s4, vcc_lo, s4
	s_waitcnt vmcnt(0)
	v_pk_mul_f16 v3, v3, v4 op_sel:[0,1] op_sel_hi:[0,0]
	v_pk_fma_f16 v8, v7, v4, v3 neg_lo:[0,0,1] neg_hi:[0,0,1]
	v_pk_fma_f16 v3, v7, v4, v3 op_sel_hi:[0,1,1]
	v_bfi_b32 v3, 0xffff, v8, v3
	global_store_dword v[5:6], v3, off
	s_andn2_b32 exec_lo, exec_lo, s4
	s_cbranch_execnz .LBB9_6
.LBB9_7:
	s_endpgm
	.section	.rodata,"a",@progbits
	.p2align	6, 0x0
	.amdhsa_kernel _ZN4vllm31batched_rotary_embedding_kernelIN3c104HalfELb0EEEvPKlPT_S6_PKS5_S4_illliii
		.amdhsa_group_segment_fixed_size 0
		.amdhsa_private_segment_fixed_size 0
		.amdhsa_kernarg_size 344
		.amdhsa_user_sgpr_count 6
		.amdhsa_user_sgpr_private_segment_buffer 1
		.amdhsa_user_sgpr_dispatch_ptr 0
		.amdhsa_user_sgpr_queue_ptr 0
		.amdhsa_user_sgpr_kernarg_segment_ptr 1
		.amdhsa_user_sgpr_dispatch_id 0
		.amdhsa_user_sgpr_flat_scratch_init 0
		.amdhsa_user_sgpr_private_segment_size 0
		.amdhsa_wavefront_size32 1
		.amdhsa_uses_dynamic_stack 0
		.amdhsa_system_sgpr_private_segment_wavefront_offset 0
		.amdhsa_system_sgpr_workgroup_id_x 1
		.amdhsa_system_sgpr_workgroup_id_y 0
		.amdhsa_system_sgpr_workgroup_id_z 0
		.amdhsa_system_sgpr_workgroup_info 0
		.amdhsa_system_vgpr_workitem_id 0
		.amdhsa_next_free_vgpr 12
		.amdhsa_next_free_sgpr 27
		.amdhsa_reserve_vcc 1
		.amdhsa_reserve_flat_scratch 0
		.amdhsa_float_round_mode_32 0
		.amdhsa_float_round_mode_16_64 0
		.amdhsa_float_denorm_mode_32 3
		.amdhsa_float_denorm_mode_16_64 3
		.amdhsa_dx10_clamp 1
		.amdhsa_ieee_mode 1
		.amdhsa_fp16_overflow 0
		.amdhsa_workgroup_processor_mode 1
		.amdhsa_memory_ordered 1
		.amdhsa_forward_progress 1
		.amdhsa_shared_vgpr_count 0
		.amdhsa_exception_fp_ieee_invalid_op 0
		.amdhsa_exception_fp_denorm_src 0
		.amdhsa_exception_fp_ieee_div_zero 0
		.amdhsa_exception_fp_ieee_overflow 0
		.amdhsa_exception_fp_ieee_underflow 0
		.amdhsa_exception_fp_ieee_inexact 0
		.amdhsa_exception_int_div_zero 0
	.end_amdhsa_kernel
	.section	.text._ZN4vllm31batched_rotary_embedding_kernelIN3c104HalfELb0EEEvPKlPT_S6_PKS5_S4_illliii,"axG",@progbits,_ZN4vllm31batched_rotary_embedding_kernelIN3c104HalfELb0EEEvPKlPT_S6_PKS5_S4_illliii,comdat
.Lfunc_end9:
	.size	_ZN4vllm31batched_rotary_embedding_kernelIN3c104HalfELb0EEEvPKlPT_S6_PKS5_S4_illliii, .Lfunc_end9-_ZN4vllm31batched_rotary_embedding_kernelIN3c104HalfELb0EEEvPKlPT_S6_PKS5_S4_illliii
                                        ; -- End function
	.set _ZN4vllm31batched_rotary_embedding_kernelIN3c104HalfELb0EEEvPKlPT_S6_PKS5_S4_illliii.num_vgpr, 12
	.set _ZN4vllm31batched_rotary_embedding_kernelIN3c104HalfELb0EEEvPKlPT_S6_PKS5_S4_illliii.num_agpr, 0
	.set _ZN4vllm31batched_rotary_embedding_kernelIN3c104HalfELb0EEEvPKlPT_S6_PKS5_S4_illliii.numbered_sgpr, 27
	.set _ZN4vllm31batched_rotary_embedding_kernelIN3c104HalfELb0EEEvPKlPT_S6_PKS5_S4_illliii.num_named_barrier, 0
	.set _ZN4vllm31batched_rotary_embedding_kernelIN3c104HalfELb0EEEvPKlPT_S6_PKS5_S4_illliii.private_seg_size, 0
	.set _ZN4vllm31batched_rotary_embedding_kernelIN3c104HalfELb0EEEvPKlPT_S6_PKS5_S4_illliii.uses_vcc, 1
	.set _ZN4vllm31batched_rotary_embedding_kernelIN3c104HalfELb0EEEvPKlPT_S6_PKS5_S4_illliii.uses_flat_scratch, 0
	.set _ZN4vllm31batched_rotary_embedding_kernelIN3c104HalfELb0EEEvPKlPT_S6_PKS5_S4_illliii.has_dyn_sized_stack, 0
	.set _ZN4vllm31batched_rotary_embedding_kernelIN3c104HalfELb0EEEvPKlPT_S6_PKS5_S4_illliii.has_recursion, 0
	.set _ZN4vllm31batched_rotary_embedding_kernelIN3c104HalfELb0EEEvPKlPT_S6_PKS5_S4_illliii.has_indirect_call, 0
	.section	.AMDGPU.csdata,"",@progbits
; Kernel info:
; codeLenInByte = 1140
; TotalNumSgprs: 29
; NumVgprs: 12
; ScratchSize: 0
; MemoryBound: 0
; FloatMode: 240
; IeeeMode: 1
; LDSByteSize: 0 bytes/workgroup (compile time only)
; SGPRBlocks: 0
; VGPRBlocks: 1
; NumSGPRsForWavesPerEU: 29
; NumVGPRsForWavesPerEU: 12
; Occupancy: 16
; WaveLimiterHint : 1
; COMPUTE_PGM_RSRC2:SCRATCH_EN: 0
; COMPUTE_PGM_RSRC2:USER_SGPR: 6
; COMPUTE_PGM_RSRC2:TRAP_HANDLER: 0
; COMPUTE_PGM_RSRC2:TGID_X_EN: 1
; COMPUTE_PGM_RSRC2:TGID_Y_EN: 0
; COMPUTE_PGM_RSRC2:TGID_Z_EN: 0
; COMPUTE_PGM_RSRC2:TIDIG_COMP_CNT: 0
	.section	.text._ZN4vllm31batched_rotary_embedding_kernelIN3c108BFloat16ELb1EEEvPKlPT_S6_PKS5_S4_illliii,"axG",@progbits,_ZN4vllm31batched_rotary_embedding_kernelIN3c108BFloat16ELb1EEEvPKlPT_S6_PKS5_S4_illliii,comdat
	.protected	_ZN4vllm31batched_rotary_embedding_kernelIN3c108BFloat16ELb1EEEvPKlPT_S6_PKS5_S4_illliii ; -- Begin function _ZN4vllm31batched_rotary_embedding_kernelIN3c108BFloat16ELb1EEEvPKlPT_S6_PKS5_S4_illliii
	.globl	_ZN4vllm31batched_rotary_embedding_kernelIN3c108BFloat16ELb1EEEvPKlPT_S6_PKS5_S4_illliii
	.p2align	8
	.type	_ZN4vllm31batched_rotary_embedding_kernelIN3c108BFloat16ELb1EEEvPKlPT_S6_PKS5_S4_illliii,@function
_ZN4vllm31batched_rotary_embedding_kernelIN3c108BFloat16ELb1EEEvPKlPT_S6_PKS5_S4_illliii: ; @_ZN4vllm31batched_rotary_embedding_kernelIN3c108BFloat16ELb1EEEvPKlPT_S6_PKS5_S4_illliii
; %bb.0:
	s_clause 0x2
	s_load_dword s21, s[4:5], 0x28
	s_load_dwordx2 s[0:1], s[4:5], 0x0
	s_load_dwordx2 s[2:3], s[4:5], 0x20
	s_ashr_i32 s7, s6, 31
	s_load_dwordx4 s[16:19], s[4:5], 0x10
	s_lshl_b64 s[8:9], s[6:7], 3
	s_mov_b32 s22, exec_lo
	s_waitcnt lgkmcnt(0)
	s_ashr_i32 s20, s21, 31
	s_add_u32 s0, s0, s8
	s_addc_u32 s1, s1, s9
	s_add_u32 s2, s2, s8
	s_addc_u32 s3, s3, s9
	s_load_dwordx2 s[0:1], s[0:1], 0x0
	s_load_dwordx2 s[2:3], s[2:3], 0x0
	s_load_dwordx8 s[8:15], s[4:5], 0x30
	s_waitcnt lgkmcnt(0)
	s_add_u32 s0, s2, s0
	s_addc_u32 s1, s3, s1
	s_mul_i32 s2, s0, s20
	s_mul_hi_u32 s3, s0, s21
	s_mul_i32 s1, s1, s21
	s_add_i32 s2, s3, s2
	s_mul_i32 s0, s0, s21
	s_add_i32 s1, s2, s1
	s_lshl_b64 s[2:3], s[0:1], 1
	s_add_u32 s1, s18, s2
	s_addc_u32 s20, s19, s3
	s_lshr_b32 s0, s21, 31
	s_add_i32 s21, s21, s0
	s_ashr_i32 s18, s21, 1
	s_ashr_i32 s19, s18, 31
	s_mul_i32 s21, s14, s18
	s_lshl_b64 s[2:3], s[18:19], 1
	s_add_u32 s14, s1, s2
	s_addc_u32 s19, s20, s3
	v_cmpx_gt_i32_e64 s21, v0
	s_cbranch_execz .LBB10_3
; %bb.1:
	s_load_dwordx2 s[24:25], s[4:5], 0x8
	s_mul_i32 s0, s8, s7
	s_mul_hi_u32 s23, s8, s6
	s_mul_i32 s9, s9, s6
	s_add_i32 s0, s23, s0
	s_mul_i32 s8, s8, s6
	s_add_i32 s9, s0, s9
	s_load_dword s0, s[4:5], 0x64
	s_lshl_b64 s[8:9], s[8:9], 1
	v_mov_b32_e32 v3, 0x7fc0
	s_mov_b32 s26, 0
	s_waitcnt lgkmcnt(0)
	s_add_u32 s8, s24, s8
	s_addc_u32 s9, s25, s9
	s_abs_i32 s23, s18
	s_ashr_i32 s25, s18, 31
	v_cvt_f32_u32_e32 v1, s23
	s_sub_i32 s24, 0, s23
	s_sub_i32 s27, 0, s18
	v_rcp_iflag_f32_e32 v1, v1
	v_mul_f32_e32 v1, 0x4f7ffffe, v1
	v_cvt_u32_f32_e32 v1, v1
	v_mul_lo_u32 v2, s24, v1
	s_and_b32 s24, s0, 0xffff
	v_mul_hi_u32 v4, v1, v2
	v_mov_b32_e32 v2, 1
	v_add_nc_u32_e32 v4, v1, v4
	v_mov_b32_e32 v1, v0
.LBB10_2:                               ; =>This Inner Loop Header: Depth=1
	v_sub_nc_u32_e32 v5, 0, v1
	v_ashrrev_i32_e32 v6, 31, v1
	v_max_i32_e32 v5, v1, v5
	v_xor_b32_e32 v6, s25, v6
	v_mul_hi_u32 v7, v5, v4
	v_mul_lo_u32 v8, v7, s23
	v_add_nc_u32_e32 v9, 1, v7
	v_sub_nc_u32_e32 v5, v5, v8
	v_subrev_nc_u32_e32 v8, s23, v5
	v_cmp_le_u32_e32 vcc_lo, s23, v5
	v_cndmask_b32_e32 v7, v7, v9, vcc_lo
	v_cndmask_b32_e32 v5, v5, v8, vcc_lo
	v_add_nc_u32_e32 v8, 1, v7
	v_cmp_le_u32_e32 vcc_lo, s23, v5
	v_cndmask_b32_e32 v5, v7, v8, vcc_lo
	v_xor_b32_e32 v5, v5, v6
	v_sub_nc_u32_e32 v7, v5, v6
	v_ashrrev_i32_e32 v9, 31, v7
	v_mad_u64_u32 v[5:6], null, s27, v7, v[1:2]
	v_mul_lo_u32 v10, s13, v7
	v_mad_u64_u32 v[7:8], null, s12, v7, 0
	v_mul_lo_u32 v9, s12, v9
	v_add_nc_u32_e32 v1, s24, v1
	v_ashrrev_i32_e32 v6, 31, v5
	v_add3_u32 v8, v8, v9, v10
	v_lshlrev_b64 v[5:6], 1, v[5:6]
	v_lshlrev_b64 v[7:8], 1, v[7:8]
	v_add_co_u32 v9, vcc_lo, s1, v5
	v_add_co_ci_u32_e64 v10, null, s20, v6, vcc_lo
	v_add_co_u32 v11, vcc_lo, s14, v5
	v_add_co_ci_u32_e64 v12, null, s19, v6, vcc_lo
	;; [unrolled: 2-line block ×3, first 2 shown]
	s_clause 0x1
	global_load_ushort v9, v[9:10], off
	global_load_ushort v10, v[11:12], off
	v_add_co_u32 v5, vcc_lo, v7, v5
	v_add_co_ci_u32_e64 v6, null, v8, v6, vcc_lo
	v_add_co_u32 v7, vcc_lo, v5, s2
	v_add_co_ci_u32_e64 v8, null, s3, v6, vcc_lo
	s_clause 0x1
	global_load_ushort v11, v[5:6], off
	global_load_ushort v12, v[7:8], off
	s_waitcnt vmcnt(3)
	v_lshlrev_b32_e32 v9, 16, v9
	s_waitcnt vmcnt(2)
	v_lshlrev_b32_e32 v10, 16, v10
	;; [unrolled: 2-line block ×4, first 2 shown]
	v_mul_f32_e32 v13, v9, v11
	v_mul_f32_e32 v11, v10, v11
	;; [unrolled: 1-line block ×4, first 2 shown]
	v_bfe_u32 v14, v13, 16, 1
	v_and_b32_sdwa v12, v11, v2 dst_sel:DWORD dst_unused:UNUSED_PAD src0_sel:WORD_1 src1_sel:DWORD
	v_bfe_u32 v15, v10, 16, 1
	v_and_b32_sdwa v16, v9, v2 dst_sel:DWORD dst_unused:UNUSED_PAD src0_sel:WORD_1 src1_sel:DWORD
	v_cmp_o_f32_e32 vcc_lo, v13, v13
	v_add3_u32 v14, v13, v14, 0x7fff
	v_add3_u32 v12, v11, v12, 0x7fff
	;; [unrolled: 1-line block ×4, first 2 shown]
	v_cmp_o_f32_e64 s0, v11, v11
	v_and_b32_e32 v14, 0xffff0000, v14
	v_and_b32_e32 v12, 0xffff0000, v12
	;; [unrolled: 1-line block ×4, first 2 shown]
	v_cndmask_b32_e32 v14, 0x7fc00000, v14, vcc_lo
	v_cmp_o_f32_e32 vcc_lo, v10, v10
	v_cndmask_b32_e64 v12, 0x7fc00000, v12, s0
	v_cmp_le_i32_e64 s0, s21, v1
	v_cndmask_b32_e32 v10, 0x7fc00000, v11, vcc_lo
	v_cmp_o_f32_e32 vcc_lo, v9, v9
	s_or_b32 s26, s0, s26
	v_sub_f32_e32 v10, v14, v10
	v_cndmask_b32_e32 v9, 0x7fc00000, v13, vcc_lo
	v_bfe_u32 v11, v10, 16, 1
	v_add_f32_e32 v9, v12, v9
	v_add3_u32 v11, v10, v11, 0x7fff
	v_bfe_u32 v12, v9, 16, 1
	v_cmp_o_f32_e32 vcc_lo, v9, v9
	v_lshrrev_b32_e32 v11, 16, v11
	v_add3_u32 v9, v9, v12, 0x7fff
	v_cndmask_b32_sdwa v9, v3, v9, vcc_lo dst_sel:DWORD dst_unused:UNUSED_PAD src0_sel:DWORD src1_sel:WORD_1
	v_cmp_o_f32_e32 vcc_lo, v10, v10
	v_cndmask_b32_e32 v10, 0x7fc0, v11, vcc_lo
	global_store_short v[5:6], v10, off
	global_store_short v[7:8], v9, off
	s_andn2_b32 exec_lo, exec_lo, s26
	s_cbranch_execnz .LBB10_2
.LBB10_3:
	s_or_b32 exec_lo, exec_lo, s22
	s_cmp_lg_u64 s[16:17], 0
	s_cbranch_scc0 .LBB10_7
; %bb.4:
	s_mul_i32 s8, s15, s18
	s_mov_b32 s0, exec_lo
	v_cmpx_gt_i32_e64 s8, v0
	s_cbranch_execz .LBB10_7
; %bb.5:
	s_mul_i32 s0, s10, s7
	s_mul_hi_u32 s7, s10, s6
	s_add_i32 s0, s7, s0
	s_mul_i32 s7, s11, s6
	s_mul_i32 s6, s10, s6
	s_add_i32 s7, s0, s7
	s_load_dword s0, s[4:5], 0x64
	s_lshl_b64 s[6:7], s[6:7], 1
	s_mov_b32 s10, 0
	s_add_u32 s6, s16, s6
	s_addc_u32 s7, s17, s7
	s_abs_i32 s9, s18
	s_ashr_i32 s5, s18, 31
	v_cvt_f32_u32_e32 v1, s9
	s_sub_i32 s4, 0, s9
	s_sub_i32 s11, 0, s18
	v_rcp_iflag_f32_e32 v1, v1
	v_mul_f32_e32 v1, 0x4f7ffffe, v1
	v_cvt_u32_f32_e32 v2, v1
	v_mul_lo_u32 v1, s4, v2
	s_waitcnt lgkmcnt(0)
	s_and_b32 s4, s0, 0xffff
	v_mul_hi_u32 v3, v2, v1
	v_mov_b32_e32 v1, 1
	v_add_nc_u32_e32 v2, v2, v3
	v_mov_b32_e32 v3, 0x7fc0
.LBB10_6:                               ; =>This Inner Loop Header: Depth=1
	v_sub_nc_u32_e32 v4, 0, v0
	v_ashrrev_i32_e32 v5, 31, v0
	v_max_i32_e32 v4, v0, v4
	v_xor_b32_e32 v5, s5, v5
	v_mul_hi_u32 v6, v4, v2
	v_mul_lo_u32 v7, v6, s9
	v_add_nc_u32_e32 v8, 1, v6
	v_sub_nc_u32_e32 v4, v4, v7
	v_subrev_nc_u32_e32 v7, s9, v4
	v_cmp_le_u32_e32 vcc_lo, s9, v4
	v_cndmask_b32_e32 v6, v6, v8, vcc_lo
	v_cndmask_b32_e32 v4, v4, v7, vcc_lo
	v_add_nc_u32_e32 v7, 1, v6
	v_cmp_le_u32_e32 vcc_lo, s9, v4
	v_cndmask_b32_e32 v4, v6, v7, vcc_lo
	v_xor_b32_e32 v4, v4, v5
	v_sub_nc_u32_e32 v6, v4, v5
	v_ashrrev_i32_e32 v8, 31, v6
	v_mad_u64_u32 v[4:5], null, s11, v6, v[0:1]
	v_mul_lo_u32 v9, s13, v6
	v_mad_u64_u32 v[6:7], null, s12, v6, 0
	v_mul_lo_u32 v8, s12, v8
	v_add_nc_u32_e32 v0, s4, v0
	v_ashrrev_i32_e32 v5, 31, v4
	v_add3_u32 v7, v7, v8, v9
	v_lshlrev_b64 v[4:5], 1, v[4:5]
	v_lshlrev_b64 v[6:7], 1, v[6:7]
	v_add_co_u32 v8, vcc_lo, s1, v4
	v_add_co_ci_u32_e64 v9, null, s20, v5, vcc_lo
	v_add_co_u32 v10, vcc_lo, s14, v4
	v_add_co_ci_u32_e64 v11, null, s19, v5, vcc_lo
	;; [unrolled: 2-line block ×3, first 2 shown]
	s_clause 0x1
	global_load_ushort v8, v[8:9], off
	global_load_ushort v9, v[10:11], off
	v_add_co_u32 v4, vcc_lo, v6, v4
	v_add_co_ci_u32_e64 v5, null, v7, v5, vcc_lo
	v_add_co_u32 v6, vcc_lo, v4, s2
	v_add_co_ci_u32_e64 v7, null, s3, v5, vcc_lo
	s_clause 0x1
	global_load_ushort v10, v[4:5], off
	global_load_ushort v11, v[6:7], off
	s_waitcnt vmcnt(3)
	v_lshlrev_b32_e32 v8, 16, v8
	s_waitcnt vmcnt(2)
	v_lshlrev_b32_e32 v9, 16, v9
	;; [unrolled: 2-line block ×4, first 2 shown]
	v_mul_f32_e32 v12, v8, v10
	v_mul_f32_e32 v10, v9, v10
	;; [unrolled: 1-line block ×4, first 2 shown]
	v_bfe_u32 v13, v12, 16, 1
	v_and_b32_sdwa v11, v10, v1 dst_sel:DWORD dst_unused:UNUSED_PAD src0_sel:WORD_1 src1_sel:DWORD
	v_bfe_u32 v14, v9, 16, 1
	v_and_b32_sdwa v15, v8, v1 dst_sel:DWORD dst_unused:UNUSED_PAD src0_sel:WORD_1 src1_sel:DWORD
	v_cmp_o_f32_e32 vcc_lo, v12, v12
	v_add3_u32 v13, v12, v13, 0x7fff
	v_add3_u32 v11, v10, v11, 0x7fff
	;; [unrolled: 1-line block ×4, first 2 shown]
	v_cmp_o_f32_e64 s0, v10, v10
	v_and_b32_e32 v13, 0xffff0000, v13
	v_and_b32_e32 v11, 0xffff0000, v11
	;; [unrolled: 1-line block ×4, first 2 shown]
	v_cndmask_b32_e32 v13, 0x7fc00000, v13, vcc_lo
	v_cmp_o_f32_e32 vcc_lo, v9, v9
	v_cndmask_b32_e64 v11, 0x7fc00000, v11, s0
	v_cmp_le_i32_e64 s0, s8, v0
	v_cndmask_b32_e32 v9, 0x7fc00000, v10, vcc_lo
	v_cmp_o_f32_e32 vcc_lo, v8, v8
	s_or_b32 s10, s0, s10
	v_sub_f32_e32 v9, v13, v9
	v_cndmask_b32_e32 v8, 0x7fc00000, v12, vcc_lo
	v_bfe_u32 v10, v9, 16, 1
	v_add_f32_e32 v8, v11, v8
	v_add3_u32 v10, v9, v10, 0x7fff
	v_bfe_u32 v11, v8, 16, 1
	v_cmp_o_f32_e32 vcc_lo, v8, v8
	v_lshrrev_b32_e32 v10, 16, v10
	v_add3_u32 v8, v8, v11, 0x7fff
	v_cndmask_b32_sdwa v8, v3, v8, vcc_lo dst_sel:DWORD dst_unused:UNUSED_PAD src0_sel:DWORD src1_sel:WORD_1
	v_cmp_o_f32_e32 vcc_lo, v9, v9
	v_cndmask_b32_e32 v9, 0x7fc0, v10, vcc_lo
	global_store_short v[4:5], v9, off
	global_store_short v[6:7], v8, off
	s_andn2_b32 exec_lo, exec_lo, s10
	s_cbranch_execnz .LBB10_6
.LBB10_7:
	s_endpgm
	.section	.rodata,"a",@progbits
	.p2align	6, 0x0
	.amdhsa_kernel _ZN4vllm31batched_rotary_embedding_kernelIN3c108BFloat16ELb1EEEvPKlPT_S6_PKS5_S4_illliii
		.amdhsa_group_segment_fixed_size 0
		.amdhsa_private_segment_fixed_size 0
		.amdhsa_kernarg_size 344
		.amdhsa_user_sgpr_count 6
		.amdhsa_user_sgpr_private_segment_buffer 1
		.amdhsa_user_sgpr_dispatch_ptr 0
		.amdhsa_user_sgpr_queue_ptr 0
		.amdhsa_user_sgpr_kernarg_segment_ptr 1
		.amdhsa_user_sgpr_dispatch_id 0
		.amdhsa_user_sgpr_flat_scratch_init 0
		.amdhsa_user_sgpr_private_segment_size 0
		.amdhsa_wavefront_size32 1
		.amdhsa_uses_dynamic_stack 0
		.amdhsa_system_sgpr_private_segment_wavefront_offset 0
		.amdhsa_system_sgpr_workgroup_id_x 1
		.amdhsa_system_sgpr_workgroup_id_y 0
		.amdhsa_system_sgpr_workgroup_id_z 0
		.amdhsa_system_sgpr_workgroup_info 0
		.amdhsa_system_vgpr_workitem_id 0
		.amdhsa_next_free_vgpr 17
		.amdhsa_next_free_sgpr 28
		.amdhsa_reserve_vcc 1
		.amdhsa_reserve_flat_scratch 0
		.amdhsa_float_round_mode_32 0
		.amdhsa_float_round_mode_16_64 0
		.amdhsa_float_denorm_mode_32 3
		.amdhsa_float_denorm_mode_16_64 3
		.amdhsa_dx10_clamp 1
		.amdhsa_ieee_mode 1
		.amdhsa_fp16_overflow 0
		.amdhsa_workgroup_processor_mode 1
		.amdhsa_memory_ordered 1
		.amdhsa_forward_progress 1
		.amdhsa_shared_vgpr_count 0
		.amdhsa_exception_fp_ieee_invalid_op 0
		.amdhsa_exception_fp_denorm_src 0
		.amdhsa_exception_fp_ieee_div_zero 0
		.amdhsa_exception_fp_ieee_overflow 0
		.amdhsa_exception_fp_ieee_underflow 0
		.amdhsa_exception_fp_ieee_inexact 0
		.amdhsa_exception_int_div_zero 0
	.end_amdhsa_kernel
	.section	.text._ZN4vllm31batched_rotary_embedding_kernelIN3c108BFloat16ELb1EEEvPKlPT_S6_PKS5_S4_illliii,"axG",@progbits,_ZN4vllm31batched_rotary_embedding_kernelIN3c108BFloat16ELb1EEEvPKlPT_S6_PKS5_S4_illliii,comdat
.Lfunc_end10:
	.size	_ZN4vllm31batched_rotary_embedding_kernelIN3c108BFloat16ELb1EEEvPKlPT_S6_PKS5_S4_illliii, .Lfunc_end10-_ZN4vllm31batched_rotary_embedding_kernelIN3c108BFloat16ELb1EEEvPKlPT_S6_PKS5_S4_illliii
                                        ; -- End function
	.set _ZN4vllm31batched_rotary_embedding_kernelIN3c108BFloat16ELb1EEEvPKlPT_S6_PKS5_S4_illliii.num_vgpr, 17
	.set _ZN4vllm31batched_rotary_embedding_kernelIN3c108BFloat16ELb1EEEvPKlPT_S6_PKS5_S4_illliii.num_agpr, 0
	.set _ZN4vllm31batched_rotary_embedding_kernelIN3c108BFloat16ELb1EEEvPKlPT_S6_PKS5_S4_illliii.numbered_sgpr, 28
	.set _ZN4vllm31batched_rotary_embedding_kernelIN3c108BFloat16ELb1EEEvPKlPT_S6_PKS5_S4_illliii.num_named_barrier, 0
	.set _ZN4vllm31batched_rotary_embedding_kernelIN3c108BFloat16ELb1EEEvPKlPT_S6_PKS5_S4_illliii.private_seg_size, 0
	.set _ZN4vllm31batched_rotary_embedding_kernelIN3c108BFloat16ELb1EEEvPKlPT_S6_PKS5_S4_illliii.uses_vcc, 1
	.set _ZN4vllm31batched_rotary_embedding_kernelIN3c108BFloat16ELb1EEEvPKlPT_S6_PKS5_S4_illliii.uses_flat_scratch, 0
	.set _ZN4vllm31batched_rotary_embedding_kernelIN3c108BFloat16ELb1EEEvPKlPT_S6_PKS5_S4_illliii.has_dyn_sized_stack, 0
	.set _ZN4vllm31batched_rotary_embedding_kernelIN3c108BFloat16ELb1EEEvPKlPT_S6_PKS5_S4_illliii.has_recursion, 0
	.set _ZN4vllm31batched_rotary_embedding_kernelIN3c108BFloat16ELb1EEEvPKlPT_S6_PKS5_S4_illliii.has_indirect_call, 0
	.section	.AMDGPU.csdata,"",@progbits
; Kernel info:
; codeLenInByte = 1676
; TotalNumSgprs: 30
; NumVgprs: 17
; ScratchSize: 0
; MemoryBound: 0
; FloatMode: 240
; IeeeMode: 1
; LDSByteSize: 0 bytes/workgroup (compile time only)
; SGPRBlocks: 0
; VGPRBlocks: 2
; NumSGPRsForWavesPerEU: 30
; NumVGPRsForWavesPerEU: 17
; Occupancy: 16
; WaveLimiterHint : 1
; COMPUTE_PGM_RSRC2:SCRATCH_EN: 0
; COMPUTE_PGM_RSRC2:USER_SGPR: 6
; COMPUTE_PGM_RSRC2:TRAP_HANDLER: 0
; COMPUTE_PGM_RSRC2:TGID_X_EN: 1
; COMPUTE_PGM_RSRC2:TGID_Y_EN: 0
; COMPUTE_PGM_RSRC2:TGID_Z_EN: 0
; COMPUTE_PGM_RSRC2:TIDIG_COMP_CNT: 0
	.section	.text._ZN4vllm31batched_rotary_embedding_kernelIN3c108BFloat16ELb0EEEvPKlPT_S6_PKS5_S4_illliii,"axG",@progbits,_ZN4vllm31batched_rotary_embedding_kernelIN3c108BFloat16ELb0EEEvPKlPT_S6_PKS5_S4_illliii,comdat
	.protected	_ZN4vllm31batched_rotary_embedding_kernelIN3c108BFloat16ELb0EEEvPKlPT_S6_PKS5_S4_illliii ; -- Begin function _ZN4vllm31batched_rotary_embedding_kernelIN3c108BFloat16ELb0EEEvPKlPT_S6_PKS5_S4_illliii
	.globl	_ZN4vllm31batched_rotary_embedding_kernelIN3c108BFloat16ELb0EEEvPKlPT_S6_PKS5_S4_illliii
	.p2align	8
	.type	_ZN4vllm31batched_rotary_embedding_kernelIN3c108BFloat16ELb0EEEvPKlPT_S6_PKS5_S4_illliii,@function
_ZN4vllm31batched_rotary_embedding_kernelIN3c108BFloat16ELb0EEEvPKlPT_S6_PKS5_S4_illliii: ; @_ZN4vllm31batched_rotary_embedding_kernelIN3c108BFloat16ELb0EEEvPKlPT_S6_PKS5_S4_illliii
; %bb.0:
	s_clause 0x2
	s_load_dword s21, s[4:5], 0x28
	s_load_dwordx2 s[0:1], s[4:5], 0x0
	s_load_dwordx2 s[2:3], s[4:5], 0x20
	s_ashr_i32 s7, s6, 31
	s_load_dwordx4 s[16:19], s[4:5], 0x10
	s_lshl_b64 s[8:9], s[6:7], 3
	s_mov_b32 s23, exec_lo
	s_waitcnt lgkmcnt(0)
	s_ashr_i32 s20, s21, 31
	s_add_u32 s0, s0, s8
	s_addc_u32 s1, s1, s9
	s_add_u32 s2, s2, s8
	s_addc_u32 s3, s3, s9
	s_load_dwordx2 s[0:1], s[0:1], 0x0
	s_load_dwordx2 s[2:3], s[2:3], 0x0
	s_load_dwordx8 s[8:15], s[4:5], 0x30
	s_waitcnt lgkmcnt(0)
	s_add_u32 s0, s2, s0
	s_addc_u32 s1, s3, s1
	s_mul_i32 s2, s0, s20
	s_mul_hi_u32 s3, s0, s21
	s_mul_i32 s1, s1, s21
	s_add_i32 s2, s3, s2
	s_mul_i32 s0, s0, s21
	s_add_i32 s1, s2, s1
	s_lshl_b64 s[0:1], s[0:1], 1
	s_add_u32 s3, s18, s0
	s_addc_u32 s20, s19, s1
	s_lshr_b32 s0, s21, 31
	s_add_i32 s21, s21, s0
	s_ashr_i32 s18, s21, 1
	s_ashr_i32 s19, s18, 31
	s_mul_i32 s22, s14, s18
	s_lshl_b64 s[0:1], s[18:19], 1
	s_add_u32 s14, s3, s0
	s_addc_u32 s21, s20, s1
	v_cmpx_gt_i32_e64 s22, v0
	s_cbranch_execz .LBB11_3
; %bb.1:
	s_load_dwordx2 s[0:1], s[4:5], 0x8
	s_mul_i32 s2, s8, s7
	s_mul_hi_u32 s24, s8, s6
	s_mul_i32 s9, s9, s6
	s_add_i32 s2, s24, s2
	s_mul_i32 s8, s8, s6
	s_add_i32 s9, s2, s9
	s_load_dword s2, s[4:5], 0x64
	s_lshl_b64 s[8:9], s[8:9], 1
	v_mov_b32_e32 v3, 1
	v_mov_b32_e32 v4, 0x7fc0
	s_mov_b32 s25, 0
	s_waitcnt lgkmcnt(0)
	s_add_u32 s8, s0, s8
	s_addc_u32 s9, s1, s9
	s_abs_i32 s24, s18
	s_sub_i32 s29, 0, s18
	v_cvt_f32_u32_e32 v1, s24
	s_sub_i32 s0, 0, s24
	s_and_b32 s26, s2, 0xffff
	v_rcp_iflag_f32_e32 v1, v1
	s_lshl_b32 s28, s26, 1
	v_mul_f32_e32 v1, 0x4f7ffffe, v1
	v_cvt_u32_f32_e32 v2, v1
	v_mul_lo_u32 v1, s0, v2
	s_lshl_b32 s0, s18, 1
	s_sub_i32 s27, 0, s0
	v_mul_hi_u32 v5, v2, v1
	v_lshlrev_b32_e32 v1, 1, v0
	v_add_nc_u32_e32 v5, v2, v5
	v_mov_b32_e32 v2, v0
.LBB11_2:                               ; =>This Inner Loop Header: Depth=1
	v_sub_nc_u32_e32 v6, 0, v2
	v_ashrrev_i32_e32 v7, 31, v2
	v_max_i32_e32 v6, v2, v6
	v_xor_b32_e32 v7, s19, v7
	v_mul_hi_u32 v8, v6, v5
	v_mul_lo_u32 v9, v8, s24
	v_add_nc_u32_e32 v10, 1, v8
	v_sub_nc_u32_e32 v6, v6, v9
	v_subrev_nc_u32_e32 v9, s24, v6
	v_cmp_le_u32_e32 vcc_lo, s24, v6
	v_cndmask_b32_e32 v8, v8, v10, vcc_lo
	v_cndmask_b32_e32 v6, v6, v9, vcc_lo
	v_add_nc_u32_e32 v9, 1, v8
	v_cmp_le_u32_e32 vcc_lo, s24, v6
	v_cndmask_b32_e32 v6, v8, v9, vcc_lo
	v_xor_b32_e32 v6, v6, v7
	v_sub_nc_u32_e32 v10, v6, v7
	v_ashrrev_i32_e32 v12, 31, v10
	v_mad_u64_u32 v[6:7], null, s29, v10, v[2:3]
	v_mul_lo_u32 v13, s13, v10
	v_mad_u64_u32 v[8:9], null, s12, v10, 0
	v_mul_lo_u32 v12, s12, v12
	v_mad_u64_u32 v[10:11], null, s27, v10, v[1:2]
	v_ashrrev_i32_e32 v7, 31, v6
	v_add_nc_u32_e32 v2, s26, v2
	v_add_nc_u32_e32 v1, s28, v1
	v_add3_u32 v9, v9, v12, v13
	v_lshlrev_b64 v[6:7], 1, v[6:7]
	v_ashrrev_i32_e32 v11, 31, v10
	v_lshlrev_b64 v[8:9], 1, v[8:9]
	v_add_co_u32 v12, vcc_lo, s3, v6
	v_add_co_ci_u32_e64 v13, null, s20, v7, vcc_lo
	v_add_co_u32 v6, vcc_lo, s14, v6
	v_lshlrev_b64 v[10:11], 1, v[10:11]
	v_add_co_ci_u32_e64 v7, null, s21, v7, vcc_lo
	v_add_co_u32 v8, vcc_lo, s8, v8
	v_add_co_ci_u32_e64 v9, null, s9, v9, vcc_lo
	s_clause 0x1
	global_load_ushort v14, v[6:7], off
	global_load_ushort v12, v[12:13], off
	v_add_co_u32 v6, vcc_lo, v8, v10
	v_add_co_ci_u32_e64 v7, null, v9, v11, vcc_lo
	global_load_dword v8, v[6:7], off
	s_waitcnt vmcnt(2)
	v_lshlrev_b32_e32 v10, 16, v14
	s_waitcnt vmcnt(1)
	v_lshlrev_b32_e32 v9, 16, v12
	s_waitcnt vmcnt(0)
	v_and_b32_e32 v11, 0xffff0000, v8
	v_lshlrev_b32_e32 v8, 16, v8
	v_mul_f32_e32 v12, v11, v9
	v_mul_f32_e32 v11, v11, v10
	;; [unrolled: 1-line block ×4, first 2 shown]
	v_and_b32_sdwa v9, v12, v3 dst_sel:DWORD dst_unused:UNUSED_PAD src0_sel:WORD_1 src1_sel:DWORD
	v_and_b32_sdwa v13, v11, v3 dst_sel:DWORD dst_unused:UNUSED_PAD src0_sel:WORD_1 src1_sel:DWORD
	;; [unrolled: 1-line block ×4, first 2 shown]
	v_cmp_o_f32_e64 s1, v8, v8
	v_add3_u32 v9, v12, v9, 0x7fff
	v_add3_u32 v13, v11, v13, 0x7fff
	;; [unrolled: 1-line block ×4, first 2 shown]
	v_cmp_o_f32_e64 s2, v11, v11
	v_and_b32_e32 v9, 0xffff0000, v9
	v_and_b32_e32 v13, 0xffff0000, v13
	v_and_b32_e32 v14, 0xffff0000, v14
	v_and_b32_e32 v15, 0xffff0000, v15
	v_cmp_o_f32_e32 vcc_lo, v12, v12
	v_cmp_o_f32_e64 s0, v10, v10
	v_cndmask_b32_e64 v8, 0x7fc00000, v13, s2
	v_cndmask_b32_e64 v10, 0x7fc00000, v15, s1
	v_cndmask_b32_e32 v9, 0x7fc00000, v9, vcc_lo
	v_cndmask_b32_e64 v11, 0x7fc00000, v14, s0
	v_sub_f32_e32 v8, v10, v8
	v_add_f32_e32 v9, v11, v9
	v_and_b32_sdwa v10, v8, v3 dst_sel:DWORD dst_unused:UNUSED_PAD src0_sel:WORD_1 src1_sel:DWORD
	v_cmp_o_f32_e32 vcc_lo, v8, v8
	v_and_b32_sdwa v11, v9, v3 dst_sel:DWORD dst_unused:UNUSED_PAD src0_sel:WORD_1 src1_sel:DWORD
	v_cmp_o_f32_e64 s0, v9, v9
	v_add3_u32 v8, v8, v10, 0x7fff
	v_add3_u32 v9, v9, v11, 0x7fff
	v_cndmask_b32_sdwa v8, v4, v8, vcc_lo dst_sel:DWORD dst_unused:UNUSED_PAD src0_sel:DWORD src1_sel:WORD_1
	s_mov_b32 vcc_lo, s0
	v_cndmask_b32_sdwa v9, v4, v9, vcc_lo dst_sel:DWORD dst_unused:UNUSED_PAD src0_sel:DWORD src1_sel:WORD_1
	v_cmp_le_i32_e32 vcc_lo, s22, v2
	v_perm_b32 v8, v9, v8, 0x5040100
	s_or_b32 s25, vcc_lo, s25
	global_store_dword v[6:7], v8, off
	s_andn2_b32 exec_lo, exec_lo, s25
	s_cbranch_execnz .LBB11_2
.LBB11_3:
	s_or_b32 exec_lo, exec_lo, s23
	s_cmp_lg_u64 s[16:17], 0
	s_cbranch_scc0 .LBB11_7
; %bb.4:
	s_mul_i32 s8, s15, s18
	s_mov_b32 s0, exec_lo
	v_cmpx_gt_i32_e64 s8, v0
	s_cbranch_execz .LBB11_7
; %bb.5:
	s_mul_i32 s0, s10, s7
	s_mul_hi_u32 s1, s10, s6
	s_mul_i32 s2, s11, s6
	s_add_i32 s1, s1, s0
	s_mul_i32 s0, s10, s6
	s_add_i32 s1, s1, s2
	v_mov_b32_e32 v2, 1
	s_lshl_b64 s[0:1], s[0:1], 1
	s_add_u32 s6, s16, s0
	s_addc_u32 s7, s17, s1
	s_abs_i32 s9, s18
	s_load_dword s0, s[4:5], 0x64
	v_cvt_f32_u32_e32 v1, s9
	s_sub_i32 s1, 0, s9
	s_mov_b32 s4, 0
	s_sub_i32 s15, 0, s18
	v_rcp_iflag_f32_e32 v1, v1
	v_mul_f32_e32 v1, 0x4f7ffffe, v1
	s_waitcnt lgkmcnt(0)
	s_and_b32 s5, s0, 0xffff
	v_cvt_u32_f32_e32 v3, v1
	s_lshl_b32 s11, s5, 1
	v_mul_lo_u32 v1, s1, v3
	s_lshl_b32 s1, s18, 1
	s_sub_i32 s10, 0, s1
	v_mul_hi_u32 v4, v3, v1
	v_lshlrev_b32_e32 v1, 1, v0
	v_add_nc_u32_e32 v3, v3, v4
	v_mov_b32_e32 v4, 0x7fc0
.LBB11_6:                               ; =>This Inner Loop Header: Depth=1
	v_sub_nc_u32_e32 v5, 0, v0
	v_ashrrev_i32_e32 v6, 31, v0
	v_max_i32_e32 v5, v0, v5
	v_xor_b32_e32 v6, s19, v6
	v_mul_hi_u32 v7, v5, v3
	v_mul_lo_u32 v8, v7, s9
	v_add_nc_u32_e32 v9, 1, v7
	v_sub_nc_u32_e32 v5, v5, v8
	v_subrev_nc_u32_e32 v8, s9, v5
	v_cmp_le_u32_e32 vcc_lo, s9, v5
	v_cndmask_b32_e32 v7, v7, v9, vcc_lo
	v_cndmask_b32_e32 v5, v5, v8, vcc_lo
	v_add_nc_u32_e32 v8, 1, v7
	v_cmp_le_u32_e32 vcc_lo, s9, v5
	v_cndmask_b32_e32 v5, v7, v8, vcc_lo
	v_xor_b32_e32 v5, v5, v6
	v_sub_nc_u32_e32 v9, v5, v6
	v_ashrrev_i32_e32 v11, 31, v9
	v_mad_u64_u32 v[5:6], null, s15, v9, v[0:1]
	v_mul_lo_u32 v12, s13, v9
	v_mad_u64_u32 v[7:8], null, s12, v9, 0
	v_mul_lo_u32 v11, s12, v11
	v_mad_u64_u32 v[9:10], null, s10, v9, v[1:2]
	v_ashrrev_i32_e32 v6, 31, v5
	v_add_nc_u32_e32 v0, s5, v0
	v_add_nc_u32_e32 v1, s11, v1
	v_add3_u32 v8, v8, v11, v12
	v_lshlrev_b64 v[5:6], 1, v[5:6]
	v_ashrrev_i32_e32 v10, 31, v9
	v_lshlrev_b64 v[7:8], 1, v[7:8]
	v_add_co_u32 v11, vcc_lo, s3, v5
	v_add_co_ci_u32_e64 v12, null, s20, v6, vcc_lo
	v_add_co_u32 v5, vcc_lo, s14, v5
	v_lshlrev_b64 v[9:10], 1, v[9:10]
	v_add_co_ci_u32_e64 v6, null, s21, v6, vcc_lo
	v_add_co_u32 v7, vcc_lo, s6, v7
	v_add_co_ci_u32_e64 v8, null, s7, v8, vcc_lo
	s_clause 0x1
	global_load_ushort v13, v[5:6], off
	global_load_ushort v11, v[11:12], off
	v_add_co_u32 v5, vcc_lo, v7, v9
	v_add_co_ci_u32_e64 v6, null, v8, v10, vcc_lo
	global_load_dword v7, v[5:6], off
	s_waitcnt vmcnt(2)
	v_lshlrev_b32_e32 v9, 16, v13
	s_waitcnt vmcnt(1)
	v_lshlrev_b32_e32 v8, 16, v11
	s_waitcnt vmcnt(0)
	v_and_b32_e32 v10, 0xffff0000, v7
	v_lshlrev_b32_e32 v7, 16, v7
	v_mul_f32_e32 v11, v10, v8
	v_mul_f32_e32 v10, v10, v9
	;; [unrolled: 1-line block ×4, first 2 shown]
	v_and_b32_sdwa v8, v11, v2 dst_sel:DWORD dst_unused:UNUSED_PAD src0_sel:WORD_1 src1_sel:DWORD
	v_and_b32_sdwa v12, v10, v2 dst_sel:DWORD dst_unused:UNUSED_PAD src0_sel:WORD_1 src1_sel:DWORD
	;; [unrolled: 1-line block ×4, first 2 shown]
	v_cmp_o_f32_e64 s1, v7, v7
	v_add3_u32 v8, v11, v8, 0x7fff
	v_add3_u32 v12, v10, v12, 0x7fff
	;; [unrolled: 1-line block ×4, first 2 shown]
	v_cmp_o_f32_e64 s2, v10, v10
	v_and_b32_e32 v8, 0xffff0000, v8
	v_and_b32_e32 v12, 0xffff0000, v12
	;; [unrolled: 1-line block ×4, first 2 shown]
	v_cmp_o_f32_e32 vcc_lo, v11, v11
	v_cmp_o_f32_e64 s0, v9, v9
	v_cndmask_b32_e64 v7, 0x7fc00000, v12, s2
	v_cndmask_b32_e64 v9, 0x7fc00000, v14, s1
	v_cndmask_b32_e32 v8, 0x7fc00000, v8, vcc_lo
	v_cndmask_b32_e64 v10, 0x7fc00000, v13, s0
	v_sub_f32_e32 v7, v9, v7
	v_add_f32_e32 v8, v10, v8
	v_and_b32_sdwa v9, v7, v2 dst_sel:DWORD dst_unused:UNUSED_PAD src0_sel:WORD_1 src1_sel:DWORD
	v_cmp_o_f32_e32 vcc_lo, v7, v7
	v_and_b32_sdwa v10, v8, v2 dst_sel:DWORD dst_unused:UNUSED_PAD src0_sel:WORD_1 src1_sel:DWORD
	v_cmp_o_f32_e64 s0, v8, v8
	v_add3_u32 v7, v7, v9, 0x7fff
	v_add3_u32 v8, v8, v10, 0x7fff
	v_cndmask_b32_sdwa v7, v4, v7, vcc_lo dst_sel:DWORD dst_unused:UNUSED_PAD src0_sel:DWORD src1_sel:WORD_1
	s_mov_b32 vcc_lo, s0
	v_cndmask_b32_sdwa v8, v4, v8, vcc_lo dst_sel:DWORD dst_unused:UNUSED_PAD src0_sel:DWORD src1_sel:WORD_1
	v_cmp_le_i32_e32 vcc_lo, s8, v0
	v_perm_b32 v7, v8, v7, 0x5040100
	s_or_b32 s4, vcc_lo, s4
	global_store_dword v[5:6], v7, off
	s_andn2_b32 exec_lo, exec_lo, s4
	s_cbranch_execnz .LBB11_6
.LBB11_7:
	s_endpgm
	.section	.rodata,"a",@progbits
	.p2align	6, 0x0
	.amdhsa_kernel _ZN4vllm31batched_rotary_embedding_kernelIN3c108BFloat16ELb0EEEvPKlPT_S6_PKS5_S4_illliii
		.amdhsa_group_segment_fixed_size 0
		.amdhsa_private_segment_fixed_size 0
		.amdhsa_kernarg_size 344
		.amdhsa_user_sgpr_count 6
		.amdhsa_user_sgpr_private_segment_buffer 1
		.amdhsa_user_sgpr_dispatch_ptr 0
		.amdhsa_user_sgpr_queue_ptr 0
		.amdhsa_user_sgpr_kernarg_segment_ptr 1
		.amdhsa_user_sgpr_dispatch_id 0
		.amdhsa_user_sgpr_flat_scratch_init 0
		.amdhsa_user_sgpr_private_segment_size 0
		.amdhsa_wavefront_size32 1
		.amdhsa_uses_dynamic_stack 0
		.amdhsa_system_sgpr_private_segment_wavefront_offset 0
		.amdhsa_system_sgpr_workgroup_id_x 1
		.amdhsa_system_sgpr_workgroup_id_y 0
		.amdhsa_system_sgpr_workgroup_id_z 0
		.amdhsa_system_sgpr_workgroup_info 0
		.amdhsa_system_vgpr_workitem_id 0
		.amdhsa_next_free_vgpr 16
		.amdhsa_next_free_sgpr 30
		.amdhsa_reserve_vcc 1
		.amdhsa_reserve_flat_scratch 0
		.amdhsa_float_round_mode_32 0
		.amdhsa_float_round_mode_16_64 0
		.amdhsa_float_denorm_mode_32 3
		.amdhsa_float_denorm_mode_16_64 3
		.amdhsa_dx10_clamp 1
		.amdhsa_ieee_mode 1
		.amdhsa_fp16_overflow 0
		.amdhsa_workgroup_processor_mode 1
		.amdhsa_memory_ordered 1
		.amdhsa_forward_progress 1
		.amdhsa_shared_vgpr_count 0
		.amdhsa_exception_fp_ieee_invalid_op 0
		.amdhsa_exception_fp_denorm_src 0
		.amdhsa_exception_fp_ieee_div_zero 0
		.amdhsa_exception_fp_ieee_overflow 0
		.amdhsa_exception_fp_ieee_underflow 0
		.amdhsa_exception_fp_ieee_inexact 0
		.amdhsa_exception_int_div_zero 0
	.end_amdhsa_kernel
	.section	.text._ZN4vllm31batched_rotary_embedding_kernelIN3c108BFloat16ELb0EEEvPKlPT_S6_PKS5_S4_illliii,"axG",@progbits,_ZN4vllm31batched_rotary_embedding_kernelIN3c108BFloat16ELb0EEEvPKlPT_S6_PKS5_S4_illliii,comdat
.Lfunc_end11:
	.size	_ZN4vllm31batched_rotary_embedding_kernelIN3c108BFloat16ELb0EEEvPKlPT_S6_PKS5_S4_illliii, .Lfunc_end11-_ZN4vllm31batched_rotary_embedding_kernelIN3c108BFloat16ELb0EEEvPKlPT_S6_PKS5_S4_illliii
                                        ; -- End function
	.set _ZN4vllm31batched_rotary_embedding_kernelIN3c108BFloat16ELb0EEEvPKlPT_S6_PKS5_S4_illliii.num_vgpr, 16
	.set _ZN4vllm31batched_rotary_embedding_kernelIN3c108BFloat16ELb0EEEvPKlPT_S6_PKS5_S4_illliii.num_agpr, 0
	.set _ZN4vllm31batched_rotary_embedding_kernelIN3c108BFloat16ELb0EEEvPKlPT_S6_PKS5_S4_illliii.numbered_sgpr, 30
	.set _ZN4vllm31batched_rotary_embedding_kernelIN3c108BFloat16ELb0EEEvPKlPT_S6_PKS5_S4_illliii.num_named_barrier, 0
	.set _ZN4vllm31batched_rotary_embedding_kernelIN3c108BFloat16ELb0EEEvPKlPT_S6_PKS5_S4_illliii.private_seg_size, 0
	.set _ZN4vllm31batched_rotary_embedding_kernelIN3c108BFloat16ELb0EEEvPKlPT_S6_PKS5_S4_illliii.uses_vcc, 1
	.set _ZN4vllm31batched_rotary_embedding_kernelIN3c108BFloat16ELb0EEEvPKlPT_S6_PKS5_S4_illliii.uses_flat_scratch, 0
	.set _ZN4vllm31batched_rotary_embedding_kernelIN3c108BFloat16ELb0EEEvPKlPT_S6_PKS5_S4_illliii.has_dyn_sized_stack, 0
	.set _ZN4vllm31batched_rotary_embedding_kernelIN3c108BFloat16ELb0EEEvPKlPT_S6_PKS5_S4_illliii.has_recursion, 0
	.set _ZN4vllm31batched_rotary_embedding_kernelIN3c108BFloat16ELb0EEEvPKlPT_S6_PKS5_S4_illliii.has_indirect_call, 0
	.section	.AMDGPU.csdata,"",@progbits
; Kernel info:
; codeLenInByte = 1732
; TotalNumSgprs: 32
; NumVgprs: 16
; ScratchSize: 0
; MemoryBound: 0
; FloatMode: 240
; IeeeMode: 1
; LDSByteSize: 0 bytes/workgroup (compile time only)
; SGPRBlocks: 0
; VGPRBlocks: 1
; NumSGPRsForWavesPerEU: 32
; NumVGPRsForWavesPerEU: 16
; Occupancy: 16
; WaveLimiterHint : 1
; COMPUTE_PGM_RSRC2:SCRATCH_EN: 0
; COMPUTE_PGM_RSRC2:USER_SGPR: 6
; COMPUTE_PGM_RSRC2:TRAP_HANDLER: 0
; COMPUTE_PGM_RSRC2:TGID_X_EN: 1
; COMPUTE_PGM_RSRC2:TGID_Y_EN: 0
; COMPUTE_PGM_RSRC2:TGID_Z_EN: 0
; COMPUTE_PGM_RSRC2:TIDIG_COMP_CNT: 0
	.section	.AMDGPU.gpr_maximums,"",@progbits
	.set amdgpu.max_num_vgpr, 0
	.set amdgpu.max_num_agpr, 0
	.set amdgpu.max_num_sgpr, 0
	.section	.AMDGPU.csdata,"",@progbits
	.type	__hip_cuid_fa5fff7a7ddb4021,@object ; @__hip_cuid_fa5fff7a7ddb4021
	.section	.bss,"aw",@nobits
	.globl	__hip_cuid_fa5fff7a7ddb4021
__hip_cuid_fa5fff7a7ddb4021:
	.byte	0                               ; 0x0
	.size	__hip_cuid_fa5fff7a7ddb4021, 1

	.ident	"AMD clang version 22.0.0git (https://github.com/RadeonOpenCompute/llvm-project roc-7.2.4 26084 f58b06dce1f9c15707c5f808fd002e18c2accf7e)"
	.section	".note.GNU-stack","",@progbits
	.addrsig
	.addrsig_sym __hip_cuid_fa5fff7a7ddb4021
	.amdgpu_metadata
---
amdhsa.kernels:
  - .args:
      - .actual_access:  read_only
        .address_space:  global
        .offset:         0
        .size:           8
        .value_kind:     global_buffer
      - .address_space:  global
        .offset:         8
        .size:           8
        .value_kind:     global_buffer
      - .address_space:  global
        .offset:         16
        .size:           8
        .value_kind:     global_buffer
      - .actual_access:  read_only
        .address_space:  global
        .offset:         24
        .size:           8
        .value_kind:     global_buffer
      - .offset:         32
        .size:           4
        .value_kind:     by_value
      - .offset:         40
        .size:           8
        .value_kind:     by_value
      - .offset:         48
        .size:           8
        .value_kind:     by_value
      - .offset:         56
        .size:           8
        .value_kind:     by_value
      - .offset:         64
        .size:           4
        .value_kind:     by_value
      - .offset:         68
        .size:           4
        .value_kind:     by_value
      - .offset:         72
        .size:           4
        .value_kind:     by_value
      - .offset:         80
        .size:           4
        .value_kind:     hidden_block_count_x
      - .offset:         84
        .size:           4
        .value_kind:     hidden_block_count_y
      - .offset:         88
        .size:           4
        .value_kind:     hidden_block_count_z
      - .offset:         92
        .size:           2
        .value_kind:     hidden_group_size_x
      - .offset:         94
        .size:           2
        .value_kind:     hidden_group_size_y
      - .offset:         96
        .size:           2
        .value_kind:     hidden_group_size_z
      - .offset:         98
        .size:           2
        .value_kind:     hidden_remainder_x
      - .offset:         100
        .size:           2
        .value_kind:     hidden_remainder_y
      - .offset:         102
        .size:           2
        .value_kind:     hidden_remainder_z
      - .offset:         120
        .size:           8
        .value_kind:     hidden_global_offset_x
      - .offset:         128
        .size:           8
        .value_kind:     hidden_global_offset_y
      - .offset:         136
        .size:           8
        .value_kind:     hidden_global_offset_z
      - .offset:         144
        .size:           2
        .value_kind:     hidden_grid_dims
    .group_segment_fixed_size: 0
    .kernarg_segment_align: 8
    .kernarg_segment_size: 336
    .language:       OpenCL C
    .language_version:
      - 2
      - 0
    .max_flat_workgroup_size: 1024
    .name:           _ZN4vllm23rotary_embedding_kernelIfLb1EEEvPKlPT_S4_PKS3_illliii
    .private_segment_fixed_size: 0
    .sgpr_count:     29
    .sgpr_spill_count: 0
    .symbol:         _ZN4vllm23rotary_embedding_kernelIfLb1EEEvPKlPT_S4_PKS3_illliii.kd
    .uniform_work_group_size: 1
    .uses_dynamic_stack: false
    .vgpr_count:     12
    .vgpr_spill_count: 0
    .wavefront_size: 32
    .workgroup_processor_mode: 1
  - .args:
      - .actual_access:  read_only
        .address_space:  global
        .offset:         0
        .size:           8
        .value_kind:     global_buffer
      - .address_space:  global
        .offset:         8
        .size:           8
        .value_kind:     global_buffer
      - .address_space:  global
        .offset:         16
        .size:           8
        .value_kind:     global_buffer
      - .actual_access:  read_only
        .address_space:  global
        .offset:         24
        .size:           8
        .value_kind:     global_buffer
      - .offset:         32
        .size:           4
        .value_kind:     by_value
      - .offset:         40
        .size:           8
        .value_kind:     by_value
      - .offset:         48
        .size:           8
        .value_kind:     by_value
      - .offset:         56
        .size:           8
        .value_kind:     by_value
      - .offset:         64
        .size:           4
        .value_kind:     by_value
      - .offset:         68
        .size:           4
        .value_kind:     by_value
      - .offset:         72
        .size:           4
        .value_kind:     by_value
      - .offset:         80
        .size:           4
        .value_kind:     hidden_block_count_x
      - .offset:         84
        .size:           4
        .value_kind:     hidden_block_count_y
      - .offset:         88
        .size:           4
        .value_kind:     hidden_block_count_z
      - .offset:         92
        .size:           2
        .value_kind:     hidden_group_size_x
      - .offset:         94
        .size:           2
        .value_kind:     hidden_group_size_y
      - .offset:         96
        .size:           2
        .value_kind:     hidden_group_size_z
      - .offset:         98
        .size:           2
        .value_kind:     hidden_remainder_x
      - .offset:         100
        .size:           2
        .value_kind:     hidden_remainder_y
      - .offset:         102
        .size:           2
        .value_kind:     hidden_remainder_z
      - .offset:         120
        .size:           8
        .value_kind:     hidden_global_offset_x
      - .offset:         128
        .size:           8
        .value_kind:     hidden_global_offset_y
      - .offset:         136
        .size:           8
        .value_kind:     hidden_global_offset_z
      - .offset:         144
        .size:           2
        .value_kind:     hidden_grid_dims
    .group_segment_fixed_size: 0
    .kernarg_segment_align: 8
    .kernarg_segment_size: 336
    .language:       OpenCL C
    .language_version:
      - 2
      - 0
    .max_flat_workgroup_size: 1024
    .name:           _ZN4vllm23rotary_embedding_kernelIfLb0EEEvPKlPT_S4_PKS3_illliii
    .private_segment_fixed_size: 0
    .sgpr_count:     29
    .sgpr_spill_count: 0
    .symbol:         _ZN4vllm23rotary_embedding_kernelIfLb0EEEvPKlPT_S4_PKS3_illliii.kd
    .uniform_work_group_size: 1
    .uses_dynamic_stack: false
    .vgpr_count:     12
    .vgpr_spill_count: 0
    .wavefront_size: 32
    .workgroup_processor_mode: 1
  - .args:
      - .actual_access:  read_only
        .address_space:  global
        .offset:         0
        .size:           8
        .value_kind:     global_buffer
      - .address_space:  global
        .offset:         8
        .size:           8
        .value_kind:     global_buffer
      - .address_space:  global
        .offset:         16
        .size:           8
        .value_kind:     global_buffer
      - .actual_access:  read_only
        .address_space:  global
        .offset:         24
        .size:           8
        .value_kind:     global_buffer
      - .offset:         32
        .size:           4
        .value_kind:     by_value
      - .offset:         40
        .size:           8
        .value_kind:     by_value
      - .offset:         48
        .size:           8
        .value_kind:     by_value
      - .offset:         56
        .size:           8
        .value_kind:     by_value
      - .offset:         64
        .size:           4
        .value_kind:     by_value
      - .offset:         68
        .size:           4
        .value_kind:     by_value
      - .offset:         72
        .size:           4
        .value_kind:     by_value
      - .offset:         80
        .size:           4
        .value_kind:     hidden_block_count_x
      - .offset:         84
        .size:           4
        .value_kind:     hidden_block_count_y
      - .offset:         88
        .size:           4
        .value_kind:     hidden_block_count_z
      - .offset:         92
        .size:           2
        .value_kind:     hidden_group_size_x
      - .offset:         94
        .size:           2
        .value_kind:     hidden_group_size_y
      - .offset:         96
        .size:           2
        .value_kind:     hidden_group_size_z
      - .offset:         98
        .size:           2
        .value_kind:     hidden_remainder_x
      - .offset:         100
        .size:           2
        .value_kind:     hidden_remainder_y
      - .offset:         102
        .size:           2
        .value_kind:     hidden_remainder_z
      - .offset:         120
        .size:           8
        .value_kind:     hidden_global_offset_x
      - .offset:         128
        .size:           8
        .value_kind:     hidden_global_offset_y
      - .offset:         136
        .size:           8
        .value_kind:     hidden_global_offset_z
      - .offset:         144
        .size:           2
        .value_kind:     hidden_grid_dims
    .group_segment_fixed_size: 0
    .kernarg_segment_align: 8
    .kernarg_segment_size: 336
    .language:       OpenCL C
    .language_version:
      - 2
      - 0
    .max_flat_workgroup_size: 1024
    .name:           _ZN4vllm23rotary_embedding_kernelIN3c104HalfELb1EEEvPKlPT_S6_PKS5_illliii
    .private_segment_fixed_size: 0
    .sgpr_count:     29
    .sgpr_spill_count: 0
    .symbol:         _ZN4vllm23rotary_embedding_kernelIN3c104HalfELb1EEEvPKlPT_S6_PKS5_illliii.kd
    .uniform_work_group_size: 1
    .uses_dynamic_stack: false
    .vgpr_count:     12
    .vgpr_spill_count: 0
    .wavefront_size: 32
    .workgroup_processor_mode: 1
  - .args:
      - .actual_access:  read_only
        .address_space:  global
        .offset:         0
        .size:           8
        .value_kind:     global_buffer
      - .address_space:  global
        .offset:         8
        .size:           8
        .value_kind:     global_buffer
      - .address_space:  global
        .offset:         16
        .size:           8
        .value_kind:     global_buffer
      - .actual_access:  read_only
        .address_space:  global
        .offset:         24
        .size:           8
        .value_kind:     global_buffer
      - .offset:         32
        .size:           4
        .value_kind:     by_value
      - .offset:         40
        .size:           8
        .value_kind:     by_value
      - .offset:         48
        .size:           8
        .value_kind:     by_value
      - .offset:         56
        .size:           8
        .value_kind:     by_value
      - .offset:         64
        .size:           4
        .value_kind:     by_value
      - .offset:         68
        .size:           4
        .value_kind:     by_value
      - .offset:         72
        .size:           4
        .value_kind:     by_value
      - .offset:         80
        .size:           4
        .value_kind:     hidden_block_count_x
      - .offset:         84
        .size:           4
        .value_kind:     hidden_block_count_y
      - .offset:         88
        .size:           4
        .value_kind:     hidden_block_count_z
      - .offset:         92
        .size:           2
        .value_kind:     hidden_group_size_x
      - .offset:         94
        .size:           2
        .value_kind:     hidden_group_size_y
      - .offset:         96
        .size:           2
        .value_kind:     hidden_group_size_z
      - .offset:         98
        .size:           2
        .value_kind:     hidden_remainder_x
      - .offset:         100
        .size:           2
        .value_kind:     hidden_remainder_y
      - .offset:         102
        .size:           2
        .value_kind:     hidden_remainder_z
      - .offset:         120
        .size:           8
        .value_kind:     hidden_global_offset_x
      - .offset:         128
        .size:           8
        .value_kind:     hidden_global_offset_y
      - .offset:         136
        .size:           8
        .value_kind:     hidden_global_offset_z
      - .offset:         144
        .size:           2
        .value_kind:     hidden_grid_dims
    .group_segment_fixed_size: 0
    .kernarg_segment_align: 8
    .kernarg_segment_size: 336
    .language:       OpenCL C
    .language_version:
      - 2
      - 0
    .max_flat_workgroup_size: 1024
    .name:           _ZN4vllm23rotary_embedding_kernelIN3c104HalfELb0EEEvPKlPT_S6_PKS5_illliii
    .private_segment_fixed_size: 0
    .sgpr_count:     29
    .sgpr_spill_count: 0
    .symbol:         _ZN4vllm23rotary_embedding_kernelIN3c104HalfELb0EEEvPKlPT_S6_PKS5_illliii.kd
    .uniform_work_group_size: 1
    .uses_dynamic_stack: false
    .vgpr_count:     12
    .vgpr_spill_count: 0
    .wavefront_size: 32
    .workgroup_processor_mode: 1
  - .args:
      - .actual_access:  read_only
        .address_space:  global
        .offset:         0
        .size:           8
        .value_kind:     global_buffer
      - .address_space:  global
        .offset:         8
        .size:           8
        .value_kind:     global_buffer
      - .address_space:  global
        .offset:         16
        .size:           8
        .value_kind:     global_buffer
      - .actual_access:  read_only
        .address_space:  global
        .offset:         24
        .size:           8
        .value_kind:     global_buffer
      - .offset:         32
        .size:           4
        .value_kind:     by_value
      - .offset:         40
        .size:           8
        .value_kind:     by_value
      - .offset:         48
        .size:           8
        .value_kind:     by_value
      - .offset:         56
        .size:           8
        .value_kind:     by_value
      - .offset:         64
        .size:           4
        .value_kind:     by_value
      - .offset:         68
        .size:           4
        .value_kind:     by_value
      - .offset:         72
        .size:           4
        .value_kind:     by_value
      - .offset:         80
        .size:           4
        .value_kind:     hidden_block_count_x
      - .offset:         84
        .size:           4
        .value_kind:     hidden_block_count_y
      - .offset:         88
        .size:           4
        .value_kind:     hidden_block_count_z
      - .offset:         92
        .size:           2
        .value_kind:     hidden_group_size_x
      - .offset:         94
        .size:           2
        .value_kind:     hidden_group_size_y
      - .offset:         96
        .size:           2
        .value_kind:     hidden_group_size_z
      - .offset:         98
        .size:           2
        .value_kind:     hidden_remainder_x
      - .offset:         100
        .size:           2
        .value_kind:     hidden_remainder_y
      - .offset:         102
        .size:           2
        .value_kind:     hidden_remainder_z
      - .offset:         120
        .size:           8
        .value_kind:     hidden_global_offset_x
      - .offset:         128
        .size:           8
        .value_kind:     hidden_global_offset_y
      - .offset:         136
        .size:           8
        .value_kind:     hidden_global_offset_z
      - .offset:         144
        .size:           2
        .value_kind:     hidden_grid_dims
    .group_segment_fixed_size: 0
    .kernarg_segment_align: 8
    .kernarg_segment_size: 336
    .language:       OpenCL C
    .language_version:
      - 2
      - 0
    .max_flat_workgroup_size: 1024
    .name:           _ZN4vllm23rotary_embedding_kernelIN3c108BFloat16ELb1EEEvPKlPT_S6_PKS5_illliii
    .private_segment_fixed_size: 0
    .sgpr_count:     30
    .sgpr_spill_count: 0
    .symbol:         _ZN4vllm23rotary_embedding_kernelIN3c108BFloat16ELb1EEEvPKlPT_S6_PKS5_illliii.kd
    .uniform_work_group_size: 1
    .uses_dynamic_stack: false
    .vgpr_count:     17
    .vgpr_spill_count: 0
    .wavefront_size: 32
    .workgroup_processor_mode: 1
  - .args:
      - .actual_access:  read_only
        .address_space:  global
        .offset:         0
        .size:           8
        .value_kind:     global_buffer
      - .address_space:  global
        .offset:         8
        .size:           8
        .value_kind:     global_buffer
      - .address_space:  global
        .offset:         16
        .size:           8
        .value_kind:     global_buffer
      - .actual_access:  read_only
        .address_space:  global
        .offset:         24
        .size:           8
        .value_kind:     global_buffer
      - .offset:         32
        .size:           4
        .value_kind:     by_value
      - .offset:         40
        .size:           8
        .value_kind:     by_value
      - .offset:         48
        .size:           8
        .value_kind:     by_value
      - .offset:         56
        .size:           8
        .value_kind:     by_value
      - .offset:         64
        .size:           4
        .value_kind:     by_value
      - .offset:         68
        .size:           4
        .value_kind:     by_value
      - .offset:         72
        .size:           4
        .value_kind:     by_value
      - .offset:         80
        .size:           4
        .value_kind:     hidden_block_count_x
      - .offset:         84
        .size:           4
        .value_kind:     hidden_block_count_y
      - .offset:         88
        .size:           4
        .value_kind:     hidden_block_count_z
      - .offset:         92
        .size:           2
        .value_kind:     hidden_group_size_x
      - .offset:         94
        .size:           2
        .value_kind:     hidden_group_size_y
      - .offset:         96
        .size:           2
        .value_kind:     hidden_group_size_z
      - .offset:         98
        .size:           2
        .value_kind:     hidden_remainder_x
      - .offset:         100
        .size:           2
        .value_kind:     hidden_remainder_y
      - .offset:         102
        .size:           2
        .value_kind:     hidden_remainder_z
      - .offset:         120
        .size:           8
        .value_kind:     hidden_global_offset_x
      - .offset:         128
        .size:           8
        .value_kind:     hidden_global_offset_y
      - .offset:         136
        .size:           8
        .value_kind:     hidden_global_offset_z
      - .offset:         144
        .size:           2
        .value_kind:     hidden_grid_dims
    .group_segment_fixed_size: 0
    .kernarg_segment_align: 8
    .kernarg_segment_size: 336
    .language:       OpenCL C
    .language_version:
      - 2
      - 0
    .max_flat_workgroup_size: 1024
    .name:           _ZN4vllm23rotary_embedding_kernelIN3c108BFloat16ELb0EEEvPKlPT_S6_PKS5_illliii
    .private_segment_fixed_size: 0
    .sgpr_count:     32
    .sgpr_spill_count: 0
    .symbol:         _ZN4vllm23rotary_embedding_kernelIN3c108BFloat16ELb0EEEvPKlPT_S6_PKS5_illliii.kd
    .uniform_work_group_size: 1
    .uses_dynamic_stack: false
    .vgpr_count:     16
    .vgpr_spill_count: 0
    .wavefront_size: 32
    .workgroup_processor_mode: 1
  - .args:
      - .actual_access:  read_only
        .address_space:  global
        .offset:         0
        .size:           8
        .value_kind:     global_buffer
      - .address_space:  global
        .offset:         8
        .size:           8
        .value_kind:     global_buffer
      - .address_space:  global
        .offset:         16
        .size:           8
        .value_kind:     global_buffer
      - .actual_access:  read_only
        .address_space:  global
        .offset:         24
        .size:           8
        .value_kind:     global_buffer
      - .actual_access:  read_only
        .address_space:  global
        .offset:         32
        .size:           8
        .value_kind:     global_buffer
      - .offset:         40
        .size:           4
        .value_kind:     by_value
      - .offset:         48
        .size:           8
        .value_kind:     by_value
      - .offset:         56
        .size:           8
        .value_kind:     by_value
      - .offset:         64
        .size:           8
        .value_kind:     by_value
      - .offset:         72
        .size:           4
        .value_kind:     by_value
      - .offset:         76
        .size:           4
        .value_kind:     by_value
      - .offset:         80
        .size:           4
        .value_kind:     by_value
      - .offset:         88
        .size:           4
        .value_kind:     hidden_block_count_x
      - .offset:         92
        .size:           4
        .value_kind:     hidden_block_count_y
      - .offset:         96
        .size:           4
        .value_kind:     hidden_block_count_z
      - .offset:         100
        .size:           2
        .value_kind:     hidden_group_size_x
      - .offset:         102
        .size:           2
        .value_kind:     hidden_group_size_y
      - .offset:         104
        .size:           2
        .value_kind:     hidden_group_size_z
      - .offset:         106
        .size:           2
        .value_kind:     hidden_remainder_x
      - .offset:         108
        .size:           2
        .value_kind:     hidden_remainder_y
      - .offset:         110
        .size:           2
        .value_kind:     hidden_remainder_z
      - .offset:         128
        .size:           8
        .value_kind:     hidden_global_offset_x
      - .offset:         136
        .size:           8
        .value_kind:     hidden_global_offset_y
      - .offset:         144
        .size:           8
        .value_kind:     hidden_global_offset_z
      - .offset:         152
        .size:           2
        .value_kind:     hidden_grid_dims
    .group_segment_fixed_size: 0
    .kernarg_segment_align: 8
    .kernarg_segment_size: 344
    .language:       OpenCL C
    .language_version:
      - 2
      - 0
    .max_flat_workgroup_size: 1024
    .name:           _ZN4vllm31batched_rotary_embedding_kernelIfLb1EEEvPKlPT_S4_PKS3_S2_illliii
    .private_segment_fixed_size: 0
    .sgpr_count:     29
    .sgpr_spill_count: 0
    .symbol:         _ZN4vllm31batched_rotary_embedding_kernelIfLb1EEEvPKlPT_S4_PKS3_S2_illliii.kd
    .uniform_work_group_size: 1
    .uses_dynamic_stack: false
    .vgpr_count:     12
    .vgpr_spill_count: 0
    .wavefront_size: 32
    .workgroup_processor_mode: 1
  - .args:
      - .actual_access:  read_only
        .address_space:  global
        .offset:         0
        .size:           8
        .value_kind:     global_buffer
      - .address_space:  global
        .offset:         8
        .size:           8
        .value_kind:     global_buffer
      - .address_space:  global
        .offset:         16
        .size:           8
        .value_kind:     global_buffer
      - .actual_access:  read_only
        .address_space:  global
        .offset:         24
        .size:           8
        .value_kind:     global_buffer
      - .actual_access:  read_only
        .address_space:  global
        .offset:         32
        .size:           8
        .value_kind:     global_buffer
      - .offset:         40
        .size:           4
        .value_kind:     by_value
      - .offset:         48
        .size:           8
        .value_kind:     by_value
      - .offset:         56
        .size:           8
        .value_kind:     by_value
      - .offset:         64
        .size:           8
        .value_kind:     by_value
      - .offset:         72
        .size:           4
        .value_kind:     by_value
      - .offset:         76
        .size:           4
        .value_kind:     by_value
      - .offset:         80
        .size:           4
        .value_kind:     by_value
      - .offset:         88
        .size:           4
        .value_kind:     hidden_block_count_x
      - .offset:         92
        .size:           4
        .value_kind:     hidden_block_count_y
      - .offset:         96
        .size:           4
        .value_kind:     hidden_block_count_z
      - .offset:         100
        .size:           2
        .value_kind:     hidden_group_size_x
      - .offset:         102
        .size:           2
        .value_kind:     hidden_group_size_y
      - .offset:         104
        .size:           2
        .value_kind:     hidden_group_size_z
      - .offset:         106
        .size:           2
        .value_kind:     hidden_remainder_x
      - .offset:         108
        .size:           2
        .value_kind:     hidden_remainder_y
      - .offset:         110
        .size:           2
        .value_kind:     hidden_remainder_z
      - .offset:         128
        .size:           8
        .value_kind:     hidden_global_offset_x
      - .offset:         136
        .size:           8
        .value_kind:     hidden_global_offset_y
      - .offset:         144
        .size:           8
        .value_kind:     hidden_global_offset_z
      - .offset:         152
        .size:           2
        .value_kind:     hidden_grid_dims
    .group_segment_fixed_size: 0
    .kernarg_segment_align: 8
    .kernarg_segment_size: 344
    .language:       OpenCL C
    .language_version:
      - 2
      - 0
    .max_flat_workgroup_size: 1024
    .name:           _ZN4vllm31batched_rotary_embedding_kernelIfLb0EEEvPKlPT_S4_PKS3_S2_illliii
    .private_segment_fixed_size: 0
    .sgpr_count:     29
    .sgpr_spill_count: 0
    .symbol:         _ZN4vllm31batched_rotary_embedding_kernelIfLb0EEEvPKlPT_S4_PKS3_S2_illliii.kd
    .uniform_work_group_size: 1
    .uses_dynamic_stack: false
    .vgpr_count:     12
    .vgpr_spill_count: 0
    .wavefront_size: 32
    .workgroup_processor_mode: 1
  - .args:
      - .actual_access:  read_only
        .address_space:  global
        .offset:         0
        .size:           8
        .value_kind:     global_buffer
      - .address_space:  global
        .offset:         8
        .size:           8
        .value_kind:     global_buffer
      - .address_space:  global
        .offset:         16
        .size:           8
        .value_kind:     global_buffer
      - .actual_access:  read_only
        .address_space:  global
        .offset:         24
        .size:           8
        .value_kind:     global_buffer
      - .actual_access:  read_only
        .address_space:  global
        .offset:         32
        .size:           8
        .value_kind:     global_buffer
      - .offset:         40
        .size:           4
        .value_kind:     by_value
      - .offset:         48
        .size:           8
        .value_kind:     by_value
      - .offset:         56
        .size:           8
        .value_kind:     by_value
      - .offset:         64
        .size:           8
        .value_kind:     by_value
      - .offset:         72
        .size:           4
        .value_kind:     by_value
      - .offset:         76
        .size:           4
        .value_kind:     by_value
      - .offset:         80
        .size:           4
        .value_kind:     by_value
      - .offset:         88
        .size:           4
        .value_kind:     hidden_block_count_x
      - .offset:         92
        .size:           4
        .value_kind:     hidden_block_count_y
      - .offset:         96
        .size:           4
        .value_kind:     hidden_block_count_z
      - .offset:         100
        .size:           2
        .value_kind:     hidden_group_size_x
      - .offset:         102
        .size:           2
        .value_kind:     hidden_group_size_y
      - .offset:         104
        .size:           2
        .value_kind:     hidden_group_size_z
      - .offset:         106
        .size:           2
        .value_kind:     hidden_remainder_x
      - .offset:         108
        .size:           2
        .value_kind:     hidden_remainder_y
      - .offset:         110
        .size:           2
        .value_kind:     hidden_remainder_z
      - .offset:         128
        .size:           8
        .value_kind:     hidden_global_offset_x
      - .offset:         136
        .size:           8
        .value_kind:     hidden_global_offset_y
      - .offset:         144
        .size:           8
        .value_kind:     hidden_global_offset_z
      - .offset:         152
        .size:           2
        .value_kind:     hidden_grid_dims
    .group_segment_fixed_size: 0
    .kernarg_segment_align: 8
    .kernarg_segment_size: 344
    .language:       OpenCL C
    .language_version:
      - 2
      - 0
    .max_flat_workgroup_size: 1024
    .name:           _ZN4vllm31batched_rotary_embedding_kernelIN3c104HalfELb1EEEvPKlPT_S6_PKS5_S4_illliii
    .private_segment_fixed_size: 0
    .sgpr_count:     29
    .sgpr_spill_count: 0
    .symbol:         _ZN4vllm31batched_rotary_embedding_kernelIN3c104HalfELb1EEEvPKlPT_S6_PKS5_S4_illliii.kd
    .uniform_work_group_size: 1
    .uses_dynamic_stack: false
    .vgpr_count:     12
    .vgpr_spill_count: 0
    .wavefront_size: 32
    .workgroup_processor_mode: 1
  - .args:
      - .actual_access:  read_only
        .address_space:  global
        .offset:         0
        .size:           8
        .value_kind:     global_buffer
      - .address_space:  global
        .offset:         8
        .size:           8
        .value_kind:     global_buffer
      - .address_space:  global
        .offset:         16
        .size:           8
        .value_kind:     global_buffer
      - .actual_access:  read_only
        .address_space:  global
        .offset:         24
        .size:           8
        .value_kind:     global_buffer
      - .actual_access:  read_only
        .address_space:  global
        .offset:         32
        .size:           8
        .value_kind:     global_buffer
      - .offset:         40
        .size:           4
        .value_kind:     by_value
      - .offset:         48
        .size:           8
        .value_kind:     by_value
      - .offset:         56
        .size:           8
        .value_kind:     by_value
      - .offset:         64
        .size:           8
        .value_kind:     by_value
      - .offset:         72
        .size:           4
        .value_kind:     by_value
      - .offset:         76
        .size:           4
        .value_kind:     by_value
      - .offset:         80
        .size:           4
        .value_kind:     by_value
      - .offset:         88
        .size:           4
        .value_kind:     hidden_block_count_x
      - .offset:         92
        .size:           4
        .value_kind:     hidden_block_count_y
      - .offset:         96
        .size:           4
        .value_kind:     hidden_block_count_z
      - .offset:         100
        .size:           2
        .value_kind:     hidden_group_size_x
      - .offset:         102
        .size:           2
        .value_kind:     hidden_group_size_y
      - .offset:         104
        .size:           2
        .value_kind:     hidden_group_size_z
      - .offset:         106
        .size:           2
        .value_kind:     hidden_remainder_x
      - .offset:         108
        .size:           2
        .value_kind:     hidden_remainder_y
      - .offset:         110
        .size:           2
        .value_kind:     hidden_remainder_z
      - .offset:         128
        .size:           8
        .value_kind:     hidden_global_offset_x
      - .offset:         136
        .size:           8
        .value_kind:     hidden_global_offset_y
      - .offset:         144
        .size:           8
        .value_kind:     hidden_global_offset_z
      - .offset:         152
        .size:           2
        .value_kind:     hidden_grid_dims
    .group_segment_fixed_size: 0
    .kernarg_segment_align: 8
    .kernarg_segment_size: 344
    .language:       OpenCL C
    .language_version:
      - 2
      - 0
    .max_flat_workgroup_size: 1024
    .name:           _ZN4vllm31batched_rotary_embedding_kernelIN3c104HalfELb0EEEvPKlPT_S6_PKS5_S4_illliii
    .private_segment_fixed_size: 0
    .sgpr_count:     29
    .sgpr_spill_count: 0
    .symbol:         _ZN4vllm31batched_rotary_embedding_kernelIN3c104HalfELb0EEEvPKlPT_S6_PKS5_S4_illliii.kd
    .uniform_work_group_size: 1
    .uses_dynamic_stack: false
    .vgpr_count:     12
    .vgpr_spill_count: 0
    .wavefront_size: 32
    .workgroup_processor_mode: 1
  - .args:
      - .actual_access:  read_only
        .address_space:  global
        .offset:         0
        .size:           8
        .value_kind:     global_buffer
      - .address_space:  global
        .offset:         8
        .size:           8
        .value_kind:     global_buffer
      - .address_space:  global
        .offset:         16
        .size:           8
        .value_kind:     global_buffer
      - .actual_access:  read_only
        .address_space:  global
        .offset:         24
        .size:           8
        .value_kind:     global_buffer
      - .actual_access:  read_only
        .address_space:  global
        .offset:         32
        .size:           8
        .value_kind:     global_buffer
      - .offset:         40
        .size:           4
        .value_kind:     by_value
      - .offset:         48
        .size:           8
        .value_kind:     by_value
      - .offset:         56
        .size:           8
        .value_kind:     by_value
      - .offset:         64
        .size:           8
        .value_kind:     by_value
      - .offset:         72
        .size:           4
        .value_kind:     by_value
      - .offset:         76
        .size:           4
        .value_kind:     by_value
      - .offset:         80
        .size:           4
        .value_kind:     by_value
      - .offset:         88
        .size:           4
        .value_kind:     hidden_block_count_x
      - .offset:         92
        .size:           4
        .value_kind:     hidden_block_count_y
      - .offset:         96
        .size:           4
        .value_kind:     hidden_block_count_z
      - .offset:         100
        .size:           2
        .value_kind:     hidden_group_size_x
      - .offset:         102
        .size:           2
        .value_kind:     hidden_group_size_y
      - .offset:         104
        .size:           2
        .value_kind:     hidden_group_size_z
      - .offset:         106
        .size:           2
        .value_kind:     hidden_remainder_x
      - .offset:         108
        .size:           2
        .value_kind:     hidden_remainder_y
      - .offset:         110
        .size:           2
        .value_kind:     hidden_remainder_z
      - .offset:         128
        .size:           8
        .value_kind:     hidden_global_offset_x
      - .offset:         136
        .size:           8
        .value_kind:     hidden_global_offset_y
      - .offset:         144
        .size:           8
        .value_kind:     hidden_global_offset_z
      - .offset:         152
        .size:           2
        .value_kind:     hidden_grid_dims
    .group_segment_fixed_size: 0
    .kernarg_segment_align: 8
    .kernarg_segment_size: 344
    .language:       OpenCL C
    .language_version:
      - 2
      - 0
    .max_flat_workgroup_size: 1024
    .name:           _ZN4vllm31batched_rotary_embedding_kernelIN3c108BFloat16ELb1EEEvPKlPT_S6_PKS5_S4_illliii
    .private_segment_fixed_size: 0
    .sgpr_count:     30
    .sgpr_spill_count: 0
    .symbol:         _ZN4vllm31batched_rotary_embedding_kernelIN3c108BFloat16ELb1EEEvPKlPT_S6_PKS5_S4_illliii.kd
    .uniform_work_group_size: 1
    .uses_dynamic_stack: false
    .vgpr_count:     17
    .vgpr_spill_count: 0
    .wavefront_size: 32
    .workgroup_processor_mode: 1
  - .args:
      - .actual_access:  read_only
        .address_space:  global
        .offset:         0
        .size:           8
        .value_kind:     global_buffer
      - .address_space:  global
        .offset:         8
        .size:           8
        .value_kind:     global_buffer
      - .address_space:  global
        .offset:         16
        .size:           8
        .value_kind:     global_buffer
      - .actual_access:  read_only
        .address_space:  global
        .offset:         24
        .size:           8
        .value_kind:     global_buffer
      - .actual_access:  read_only
        .address_space:  global
        .offset:         32
        .size:           8
        .value_kind:     global_buffer
      - .offset:         40
        .size:           4
        .value_kind:     by_value
      - .offset:         48
        .size:           8
        .value_kind:     by_value
      - .offset:         56
        .size:           8
        .value_kind:     by_value
      - .offset:         64
        .size:           8
        .value_kind:     by_value
      - .offset:         72
        .size:           4
        .value_kind:     by_value
      - .offset:         76
        .size:           4
        .value_kind:     by_value
      - .offset:         80
        .size:           4
        .value_kind:     by_value
      - .offset:         88
        .size:           4
        .value_kind:     hidden_block_count_x
      - .offset:         92
        .size:           4
        .value_kind:     hidden_block_count_y
      - .offset:         96
        .size:           4
        .value_kind:     hidden_block_count_z
      - .offset:         100
        .size:           2
        .value_kind:     hidden_group_size_x
      - .offset:         102
        .size:           2
        .value_kind:     hidden_group_size_y
      - .offset:         104
        .size:           2
        .value_kind:     hidden_group_size_z
      - .offset:         106
        .size:           2
        .value_kind:     hidden_remainder_x
      - .offset:         108
        .size:           2
        .value_kind:     hidden_remainder_y
      - .offset:         110
        .size:           2
        .value_kind:     hidden_remainder_z
      - .offset:         128
        .size:           8
        .value_kind:     hidden_global_offset_x
      - .offset:         136
        .size:           8
        .value_kind:     hidden_global_offset_y
      - .offset:         144
        .size:           8
        .value_kind:     hidden_global_offset_z
      - .offset:         152
        .size:           2
        .value_kind:     hidden_grid_dims
    .group_segment_fixed_size: 0
    .kernarg_segment_align: 8
    .kernarg_segment_size: 344
    .language:       OpenCL C
    .language_version:
      - 2
      - 0
    .max_flat_workgroup_size: 1024
    .name:           _ZN4vllm31batched_rotary_embedding_kernelIN3c108BFloat16ELb0EEEvPKlPT_S6_PKS5_S4_illliii
    .private_segment_fixed_size: 0
    .sgpr_count:     32
    .sgpr_spill_count: 0
    .symbol:         _ZN4vllm31batched_rotary_embedding_kernelIN3c108BFloat16ELb0EEEvPKlPT_S6_PKS5_S4_illliii.kd
    .uniform_work_group_size: 1
    .uses_dynamic_stack: false
    .vgpr_count:     16
    .vgpr_spill_count: 0
    .wavefront_size: 32
    .workgroup_processor_mode: 1
amdhsa.target:   amdgcn-amd-amdhsa--gfx1030
amdhsa.version:
  - 1
  - 2
...

	.end_amdgpu_metadata
